;; amdgpu-corpus repo=ROCm/rocFFT kind=compiled arch=gfx1030 opt=O3
	.text
	.amdgcn_target "amdgcn-amd-amdhsa--gfx1030"
	.amdhsa_code_object_version 6
	.protected	bluestein_single_back_len2430_dim1_dp_op_CI_CI ; -- Begin function bluestein_single_back_len2430_dim1_dp_op_CI_CI
	.globl	bluestein_single_back_len2430_dim1_dp_op_CI_CI
	.p2align	8
	.type	bluestein_single_back_len2430_dim1_dp_op_CI_CI,@function
bluestein_single_back_len2430_dim1_dp_op_CI_CI: ; @bluestein_single_back_len2430_dim1_dp_op_CI_CI
; %bb.0:
	s_load_dwordx4 s[16:19], s[4:5], 0x28
	v_mul_u32_u24_e32 v1, 0x32a, v0
	s_mov_b64 s[38:39], s[2:3]
	s_mov_b64 s[36:37], s[0:1]
	v_mov_b32_e32 v3, 0
	s_add_u32 s36, s36, s7
	v_lshrrev_b32_e32 v1, 16, v1
	s_addc_u32 s37, s37, 0
	s_mov_b32 s0, exec_lo
	v_add_nc_u32_e32 v2, s6, v1
	s_waitcnt lgkmcnt(0)
	v_cmpx_gt_u64_e64 s[16:17], v[2:3]
	s_cbranch_execz .LBB0_2
; %bb.1:
	s_clause 0x1
	s_load_dwordx4 s[0:3], s[4:5], 0x18
	s_load_dwordx4 s[8:11], s[4:5], 0x0
	v_mov_b32_e32 v4, v2
	v_mul_lo_u16 v1, 0x51, v1
	s_mov_b32 s21, 0xbfee6f0e
	s_mov_b32 s17, 0xbfe2cf23
	;; [unrolled: 1-line block ×4, first 2 shown]
	v_sub_nc_u16 v196, v0, v1
	s_mov_b32 s27, 0xbfe9e377
	s_mov_b32 s26, s22
	;; [unrolled: 1-line block ×4, first 2 shown]
	v_and_b32_e32 v7, 0xffff, v196
	v_mov_b32_e32 v197, v7
	s_waitcnt lgkmcnt(0)
	s_load_dwordx4 s[12:15], s[0:1], 0x0
	buffer_store_dword v4, off, s[36:39], 0 offset:96 ; 4-byte Folded Spill
	buffer_store_dword v5, off, s[36:39], 0 offset:100 ; 4-byte Folded Spill
	v_lshlrev_b32_e32 v86, 4, v197
	v_add_co_u32 v154, s0, s8, v86
	v_add_co_ci_u32_e64 v251, null, s9, 0, s0
	s_waitcnt lgkmcnt(0)
	v_mad_u64_u32 v[0:1], null, s14, v2, 0
	v_mad_u64_u32 v[2:3], null, s12, v7, 0
	s_mul_i32 s0, s13, 0xf30
	s_mul_hi_u32 s6, s12, 0xf30
	s_mul_i32 s1, s12, 0xf30
	s_add_i32 s0, s6, s0
	s_mul_i32 s6, s13, 0xffff7c60
	s_sub_i32 s6, s6, s12
	v_mad_u64_u32 v[4:5], null, s15, v4, v[1:2]
	s_mov_b32 s14, 0x372fe950
	s_mov_b32 s15, 0x3fd3c6ef
	;; [unrolled: 1-line block ×3, first 2 shown]
	v_mad_u64_u32 v[5:6], null, s13, v7, v[3:4]
	v_mov_b32_e32 v1, v4
	v_lshlrev_b64 v[0:1], 4, v[0:1]
	v_mov_b32_e32 v3, v5
	v_add_co_u32 v0, vcc_lo, s18, v0
	v_lshlrev_b64 v[2:3], 4, v[2:3]
	v_add_co_ci_u32_e32 v1, vcc_lo, s19, v1, vcc_lo
	s_mov_b32 s18, 0x134454ff
	s_mov_b32 s19, 0x3fee6f0e
	;; [unrolled: 1-line block ×3, first 2 shown]
	v_add_co_u32 v4, vcc_lo, v0, v2
	v_add_co_ci_u32_e32 v5, vcc_lo, v1, v3, vcc_lo
	global_load_dwordx4 v[20:23], v86, s[8:9]
	global_load_dwordx4 v[0:3], v[4:5], off
	v_add_co_u32 v80, vcc_lo, 0x800, v154
	v_add_co_ci_u32_e32 v81, vcc_lo, 0, v251, vcc_lo
	v_add_co_u32 v8, vcc_lo, v4, s1
	v_add_co_ci_u32_e32 v9, vcc_lo, s0, v5, vcc_lo
	global_load_dwordx4 v[90:93], v[80:81], off offset:1840
	global_load_dwordx4 v[4:7], v[8:9], off
	v_add_co_u32 v84, vcc_lo, 0x1800, v154
	v_add_co_ci_u32_e32 v85, vcc_lo, 0, v251, vcc_lo
	v_add_co_u32 v12, vcc_lo, v8, s1
	v_add_co_ci_u32_e32 v13, vcc_lo, s0, v9, vcc_lo
	global_load_dwordx4 v[94:97], v[84:85], off offset:1632
	global_load_dwordx4 v[8:11], v[12:13], off
	v_add_co_u32 v88, vcc_lo, 0x2800, v154
	v_add_co_ci_u32_e32 v89, vcc_lo, 0, v251, vcc_lo
	v_add_co_u32 v16, vcc_lo, v12, s1
	v_add_co_ci_u32_e32 v17, vcc_lo, s0, v13, vcc_lo
	v_add_co_u32 v18, vcc_lo, 0x3800, v154
	v_add_co_ci_u32_e32 v19, vcc_lo, 0, v251, vcc_lo
	global_load_dwordx4 v[102:105], v[88:89], off offset:1424
	global_load_dwordx4 v[12:15], v[16:17], off
	v_add_co_u32 v16, vcc_lo, v16, s1
	v_add_co_ci_u32_e32 v17, vcc_lo, s0, v17, vcc_lo
	global_load_dwordx4 v[106:109], v[18:19], off offset:1216
	global_load_dwordx4 v[32:35], v[16:17], off
	v_add_co_u32 v18, vcc_lo, 0x4800, v154
	v_add_co_ci_u32_e32 v19, vcc_lo, 0, v251, vcc_lo
	v_add_co_u32 v16, vcc_lo, v16, s1
	v_add_co_ci_u32_e32 v17, vcc_lo, s0, v17, vcc_lo
	global_load_dwordx4 v[110:113], v[18:19], off offset:1008
	global_load_dwordx4 v[36:39], v[16:17], off
	v_add_co_u32 v18, vcc_lo, 0x5800, v154
	v_add_co_ci_u32_e32 v19, vcc_lo, 0, v251, vcc_lo
	v_add_co_u32 v16, vcc_lo, v16, s1
	v_add_co_ci_u32_e32 v17, vcc_lo, s0, v17, vcc_lo
	;; [unrolled: 2-line block ×3, first 2 shown]
	global_load_dwordx4 v[118:121], v[18:19], off offset:800
	global_load_dwordx4 v[40:43], v[16:17], off
	v_add_co_u32 v16, vcc_lo, v16, s1
	v_add_co_ci_u32_e32 v17, vcc_lo, s0, v17, vcc_lo
	global_load_dwordx4 v[122:125], v[68:69], off offset:592
	global_load_dwordx4 v[44:47], v[16:17], off
	v_add_co_u32 v72, vcc_lo, 0x7800, v154
	v_add_co_ci_u32_e32 v73, vcc_lo, 0, v251, vcc_lo
	v_add_co_u32 v16, vcc_lo, v16, s1
	v_add_co_ci_u32_e32 v17, vcc_lo, s0, v17, vcc_lo
	;; [unrolled: 2-line block ×3, first 2 shown]
	global_load_dwordx4 v[114:117], v[72:73], off offset:384
	global_load_dwordx4 v[48:51], v[16:17], off
	v_add_co_u32 v16, vcc_lo, v16, s1
	v_add_co_ci_u32_e32 v17, vcc_lo, s0, v17, vcc_lo
	global_load_dwordx4 v[62:65], v[76:77], off offset:176
	global_load_dwordx4 v[52:55], v[16:17], off
	v_mad_u64_u32 v[60:61], null, 0xffff7c60, s12, v[16:17]
	v_add_nc_u32_e32 v61, s6, v61
	global_load_dwordx4 v[98:101], v86, s[8:9] offset:1296
	global_load_dwordx4 v[56:59], v[60:61], off
	s_mov_b32 s8, 0xe8584caa
	s_mov_b32 s9, 0x3febb67a
	s_waitcnt vmcnt(21)
	v_mov_b32_e32 v25, v23
	v_mov_b32_e32 v24, v22
	;; [unrolled: 1-line block ×4, first 2 shown]
	buffer_store_dword v22, off, s[36:39], 0 offset:472 ; 4-byte Folded Spill
	buffer_store_dword v23, off, s[36:39], 0 offset:476 ; 4-byte Folded Spill
	buffer_store_dword v24, off, s[36:39], 0 offset:480 ; 4-byte Folded Spill
	buffer_store_dword v25, off, s[36:39], 0 offset:484 ; 4-byte Folded Spill
	s_waitcnt vmcnt(19)
	buffer_store_dword v90, off, s[36:39], 0 offset:456 ; 4-byte Folded Spill
	buffer_store_dword v91, off, s[36:39], 0 offset:460 ; 4-byte Folded Spill
	buffer_store_dword v92, off, s[36:39], 0 offset:464 ; 4-byte Folded Spill
	buffer_store_dword v93, off, s[36:39], 0 offset:468 ; 4-byte Folded Spill
	s_waitcnt vmcnt(17)
	;; [unrolled: 5-line block ×9, first 2 shown]
	buffer_store_dword v62, off, s[36:39], 0 offset:328 ; 4-byte Folded Spill
	buffer_store_dword v63, off, s[36:39], 0 offset:332 ; 4-byte Folded Spill
	;; [unrolled: 1-line block ×4, first 2 shown]
	v_mul_f64 v[16:17], v[2:3], v[24:25]
	v_mul_f64 v[18:19], v[0:1], v[24:25]
	;; [unrolled: 1-line block ×3, first 2 shown]
	v_fma_f64 v[20:21], v[0:1], v[22:23], v[16:17]
	v_mul_f64 v[0:1], v[4:5], v[92:93]
	v_fma_f64 v[22:23], v[2:3], v[22:23], -v[18:19]
	v_mul_f64 v[2:3], v[10:11], v[96:97]
	v_fma_f64 v[24:25], v[4:5], v[90:91], v[24:25]
	v_mul_f64 v[4:5], v[14:15], v[104:105]
	v_fma_f64 v[26:27], v[6:7], v[90:91], -v[0:1]
	v_mul_f64 v[0:1], v[8:9], v[96:97]
	v_fma_f64 v[28:29], v[8:9], v[94:95], v[2:3]
	v_mul_f64 v[2:3], v[34:35], v[108:109]
	v_fma_f64 v[16:17], v[12:13], v[102:103], v[4:5]
	v_mul_f64 v[4:5], v[38:39], v[112:113]
	v_mul_f64 v[6:7], v[42:43], v[120:121]
	v_fma_f64 v[30:31], v[10:11], v[94:95], -v[0:1]
	v_mul_f64 v[0:1], v[12:13], v[104:105]
	v_mul_f64 v[12:13], v[40:41], v[120:121]
	v_fma_f64 v[8:9], v[32:33], v[106:107], v[2:3]
	v_mul_f64 v[2:3], v[36:37], v[112:113]
	v_fma_f64 v[18:19], v[14:15], v[102:103], -v[0:1]
	v_mul_f64 v[0:1], v[32:33], v[108:109]
	v_mul_f64 v[14:15], v[46:47], v[124:125]
	;; [unrolled: 1-line block ×3, first 2 shown]
	v_fma_f64 v[2:3], v[38:39], v[110:111], -v[2:3]
	s_waitcnt vmcnt(2)
	v_mul_f64 v[38:39], v[54:55], v[64:65]
	v_fma_f64 v[10:11], v[34:35], v[106:107], -v[0:1]
	v_fma_f64 v[0:1], v[36:37], v[110:111], v[4:5]
	v_fma_f64 v[4:5], v[40:41], v[118:119], v[6:7]
	v_fma_f64 v[6:7], v[42:43], v[118:119], -v[12:13]
	v_fma_f64 v[12:13], v[44:45], v[122:123], v[14:15]
	s_waitcnt vmcnt(0)
	v_mul_f64 v[42:43], v[58:59], v[100:101]
	v_mul_f64 v[44:45], v[56:57], v[100:101]
	buffer_store_dword v98, off, s[36:39], 0 offset:184 ; 4-byte Folded Spill
	buffer_store_dword v99, off, s[36:39], 0 offset:188 ; 4-byte Folded Spill
	;; [unrolled: 1-line block ×4, first 2 shown]
	v_mul_f64 v[34:35], v[50:51], v[116:117]
	v_mul_f64 v[36:37], v[48:49], v[116:117]
	;; [unrolled: 1-line block ×3, first 2 shown]
	v_fma_f64 v[14:15], v[46:47], v[122:123], -v[32:33]
	v_add_co_u32 v46, vcc_lo, 0x1000, v154
	v_add_co_ci_u32_e32 v47, vcc_lo, 0, v251, vcc_lo
	v_fma_f64 v[32:33], v[48:49], v[114:115], v[34:35]
	v_fma_f64 v[34:35], v[50:51], v[114:115], -v[36:37]
	v_fma_f64 v[36:37], v[52:53], v[62:63], v[38:39]
	v_fma_f64 v[38:39], v[54:55], v[62:63], -v[40:41]
	v_add_co_u32 v48, vcc_lo, v60, s1
	v_add_co_ci_u32_e32 v49, vcc_lo, s0, v61, vcc_lo
	v_fma_f64 v[40:41], v[56:57], v[98:99], v[42:43]
	global_load_dwordx4 v[54:57], v[46:47], off offset:1088
	v_fma_f64 v[42:43], v[58:59], v[98:99], -v[44:45]
	s_waitcnt vmcnt(0)
	buffer_store_dword v54, off, s[36:39], 0 offset:200 ; 4-byte Folded Spill
	buffer_store_dword v55, off, s[36:39], 0 offset:204 ; 4-byte Folded Spill
	buffer_store_dword v56, off, s[36:39], 0 offset:208 ; 4-byte Folded Spill
	buffer_store_dword v57, off, s[36:39], 0 offset:212 ; 4-byte Folded Spill
	global_load_dwordx4 v[44:47], v[48:49], off
	s_waitcnt vmcnt(0)
	v_mul_f64 v[52:53], v[44:45], v[56:57]
	v_mul_f64 v[50:51], v[46:47], v[56:57]
	v_fma_f64 v[46:47], v[46:47], v[54:55], -v[52:53]
	v_add_co_u32 v52, vcc_lo, v48, s1
	v_add_co_ci_u32_e32 v53, vcc_lo, s0, v49, vcc_lo
	v_add_co_u32 v48, vcc_lo, 0x2000, v154
	v_add_co_ci_u32_e32 v49, vcc_lo, 0, v251, vcc_lo
	global_load_dwordx4 v[58:61], v[48:49], off offset:880
	v_fma_f64 v[44:45], v[44:45], v[54:55], v[50:51]
	s_waitcnt vmcnt(0)
	buffer_store_dword v58, off, s[36:39], 0 offset:216 ; 4-byte Folded Spill
	buffer_store_dword v59, off, s[36:39], 0 offset:220 ; 4-byte Folded Spill
	buffer_store_dword v60, off, s[36:39], 0 offset:224 ; 4-byte Folded Spill
	buffer_store_dword v61, off, s[36:39], 0 offset:228 ; 4-byte Folded Spill
	global_load_dwordx4 v[48:51], v[52:53], off
	s_waitcnt vmcnt(0)
	v_mul_f64 v[56:57], v[48:49], v[60:61]
	v_mul_f64 v[54:55], v[50:51], v[60:61]
	v_fma_f64 v[50:51], v[50:51], v[58:59], -v[56:57]
	v_add_co_u32 v56, vcc_lo, v52, s1
	v_add_co_ci_u32_e32 v57, vcc_lo, s0, v53, vcc_lo
	v_add_co_u32 v94, vcc_lo, 0x3000, v154
	v_add_co_ci_u32_e32 v95, vcc_lo, 0, v251, vcc_lo
	v_fma_f64 v[48:49], v[48:49], v[58:59], v[54:55]
	global_load_dwordx4 v[62:65], v[94:95], off offset:672
	s_waitcnt vmcnt(0)
	buffer_store_dword v62, off, s[36:39], 0 offset:232 ; 4-byte Folded Spill
	buffer_store_dword v63, off, s[36:39], 0 offset:236 ; 4-byte Folded Spill
	buffer_store_dword v64, off, s[36:39], 0 offset:240 ; 4-byte Folded Spill
	buffer_store_dword v65, off, s[36:39], 0 offset:244 ; 4-byte Folded Spill
	global_load_dwordx4 v[52:55], v[56:57], off
	s_waitcnt vmcnt(0)
	v_mul_f64 v[60:61], v[52:53], v[64:65]
	v_mul_f64 v[58:59], v[54:55], v[64:65]
	v_fma_f64 v[54:55], v[54:55], v[62:63], -v[60:61]
	v_add_co_u32 v60, vcc_lo, v56, s1
	v_add_co_ci_u32_e32 v61, vcc_lo, s0, v57, vcc_lo
	v_add_co_u32 v96, vcc_lo, 0x4000, v154
	v_add_co_ci_u32_e32 v97, vcc_lo, 0, v251, vcc_lo
	v_fma_f64 v[52:53], v[52:53], v[62:63], v[58:59]
	global_load_dwordx4 v[90:93], v[96:97], off offset:464
	;; [unrolled: 16-line block ×4, first 2 shown]
	s_waitcnt vmcnt(0)
	buffer_store_dword v90, off, s[36:39], 0 offset:296 ; 4-byte Folded Spill
	buffer_store_dword v91, off, s[36:39], 0 offset:300 ; 4-byte Folded Spill
	;; [unrolled: 1-line block ×4, first 2 shown]
	global_load_dwordx4 v[64:67], v[70:71], off
	s_waitcnt vmcnt(0)
	v_mul_f64 v[74:75], v[66:67], v[92:93]
	v_mul_f64 v[78:79], v[64:65], v[92:93]
	v_fma_f64 v[64:65], v[64:65], v[90:91], v[74:75]
	v_fma_f64 v[66:67], v[66:67], v[90:91], -v[78:79]
	global_load_dwordx4 v[90:93], v[68:69], off offset:1888
	v_add_co_u32 v74, vcc_lo, v70, s1
	v_add_co_ci_u32_e32 v75, vcc_lo, s0, v71, vcc_lo
	s_waitcnt vmcnt(0)
	buffer_store_dword v90, off, s[36:39], 0 offset:280 ; 4-byte Folded Spill
	buffer_store_dword v91, off, s[36:39], 0 offset:284 ; 4-byte Folded Spill
	;; [unrolled: 1-line block ×4, first 2 shown]
	global_load_dwordx4 v[68:71], v[74:75], off
	global_load_dwordx4 v[106:109], v[72:73], off offset:1680
	s_waitcnt vmcnt(0)
	buffer_store_dword v106, off, s[36:39], 0 offset:312 ; 4-byte Folded Spill
	buffer_store_dword v107, off, s[36:39], 0 offset:316 ; 4-byte Folded Spill
	;; [unrolled: 1-line block ×4, first 2 shown]
	v_mul_f64 v[78:79], v[70:71], v[92:93]
	v_mul_f64 v[82:83], v[68:69], v[92:93]
	v_fma_f64 v[68:69], v[68:69], v[90:91], v[78:79]
	v_add_co_u32 v78, vcc_lo, v74, s1
	v_add_co_ci_u32_e32 v79, vcc_lo, s0, v75, vcc_lo
	v_fma_f64 v[70:71], v[70:71], v[90:91], -v[82:83]
	global_load_dwordx4 v[72:75], v[78:79], off
	s_waitcnt vmcnt(0)
	v_mul_f64 v[82:83], v[74:75], v[108:109]
	v_mul_f64 v[90:91], v[72:73], v[108:109]
	v_fma_f64 v[72:73], v[72:73], v[106:107], v[82:83]
	v_fma_f64 v[74:75], v[74:75], v[106:107], -v[90:91]
	global_load_dwordx4 v[106:109], v[76:77], off offset:1472
	v_add_co_u32 v82, vcc_lo, v78, s1
	v_add_co_ci_u32_e32 v83, vcc_lo, s0, v79, vcc_lo
	s_waitcnt vmcnt(0)
	buffer_store_dword v106, off, s[36:39], 0 offset:152 ; 4-byte Folded Spill
	buffer_store_dword v107, off, s[36:39], 0 offset:156 ; 4-byte Folded Spill
	;; [unrolled: 1-line block ×4, first 2 shown]
	global_load_dwordx4 v[76:79], v[82:83], off
	s_waitcnt vmcnt(0)
	v_mul_f64 v[90:91], v[78:79], v[108:109]
	v_mul_f64 v[92:93], v[76:77], v[108:109]
	v_fma_f64 v[76:77], v[76:77], v[106:107], v[90:91]
	v_fma_f64 v[78:79], v[78:79], v[106:107], -v[92:93]
	global_load_dwordx4 v[106:109], v[80:81], off offset:544
	v_mad_u64_u32 v[90:91], null, 0xffff7c60, s12, v[82:83]
	s_mov_b32 s12, 0x4755a5e
	s_mov_b32 s13, 0x3fe2cf23
	;; [unrolled: 1-line block ×3, first 2 shown]
	s_waitcnt vmcnt(0)
	buffer_store_dword v106, off, s[36:39], 0 offset:136 ; 4-byte Folded Spill
	buffer_store_dword v107, off, s[36:39], 0 offset:140 ; 4-byte Folded Spill
	;; [unrolled: 1-line block ×4, first 2 shown]
	v_add_nc_u32_e32 v91, s6, v91
	s_mov_b32 s6, s8
	global_load_dwordx4 v[80:83], v[90:91], off
	s_waitcnt vmcnt(0)
	v_mul_f64 v[92:93], v[82:83], v[108:109]
	v_mul_f64 v[98:99], v[80:81], v[108:109]
	v_fma_f64 v[80:81], v[80:81], v[106:107], v[92:93]
	v_fma_f64 v[82:83], v[82:83], v[106:107], -v[98:99]
	global_load_dwordx4 v[106:109], v[84:85], off offset:336
	v_add_co_u32 v98, vcc_lo, v90, s1
	v_add_co_ci_u32_e32 v99, vcc_lo, s0, v91, vcc_lo
	s_waitcnt vmcnt(0)
	buffer_store_dword v106, off, s[36:39], 0 offset:168 ; 4-byte Folded Spill
	buffer_store_dword v107, off, s[36:39], 0 offset:172 ; 4-byte Folded Spill
	;; [unrolled: 1-line block ×4, first 2 shown]
	global_load_dwordx4 v[90:93], v[98:99], off
	s_waitcnt vmcnt(0)
	v_mul_f64 v[84:85], v[92:93], v[108:109]
	v_mul_f64 v[102:103], v[90:91], v[108:109]
	v_fma_f64 v[114:115], v[90:91], v[106:107], v[84:85]
	v_fma_f64 v[116:117], v[92:93], v[106:107], -v[102:103]
	global_load_dwordx4 v[106:109], v[88:89], off offset:128
	v_add_co_u32 v84, vcc_lo, v98, s1
	v_add_co_ci_u32_e32 v85, vcc_lo, s0, v99, vcc_lo
	s_waitcnt vmcnt(0)
	buffer_store_dword v106, off, s[36:39], 0 offset:104 ; 4-byte Folded Spill
	buffer_store_dword v107, off, s[36:39], 0 offset:108 ; 4-byte Folded Spill
	;; [unrolled: 1-line block ×4, first 2 shown]
	global_load_dwordx4 v[88:91], v[84:85], off
	v_add_co_u32 v84, vcc_lo, v84, s1
	v_add_co_ci_u32_e32 v85, vcc_lo, s0, v85, vcc_lo
	s_waitcnt vmcnt(0)
	v_mul_f64 v[92:93], v[90:91], v[108:109]
	v_mul_f64 v[98:99], v[88:89], v[108:109]
	v_fma_f64 v[88:89], v[88:89], v[106:107], v[92:93]
	v_fma_f64 v[90:91], v[90:91], v[106:107], -v[98:99]
	global_load_dwordx4 v[106:109], v[94:95], off offset:1968
	s_waitcnt vmcnt(0)
	buffer_store_dword v106, off, s[36:39], 0 offset:80 ; 4-byte Folded Spill
	buffer_store_dword v107, off, s[36:39], 0 offset:84 ; 4-byte Folded Spill
	;; [unrolled: 1-line block ×4, first 2 shown]
	global_load_dwordx4 v[92:95], v[84:85], off
	v_add_co_u32 v84, vcc_lo, v84, s1
	v_add_co_ci_u32_e32 v85, vcc_lo, s0, v85, vcc_lo
	s_waitcnt vmcnt(0)
	v_mul_f64 v[98:99], v[94:95], v[108:109]
	v_mul_f64 v[102:103], v[92:93], v[108:109]
	global_load_dwordx4 v[108:111], v[96:97], off offset:1760
	s_waitcnt vmcnt(0)
	buffer_store_dword v108, off, s[36:39], 0 offset:32 ; 4-byte Folded Spill
	buffer_store_dword v109, off, s[36:39], 0 offset:36 ; 4-byte Folded Spill
	;; [unrolled: 1-line block ×4, first 2 shown]
	v_fma_f64 v[92:93], v[92:93], v[106:107], v[98:99]
	global_load_dwordx4 v[96:99], v[84:85], off
	v_fma_f64 v[94:95], v[94:95], v[106:107], -v[102:103]
	v_add_co_u32 v84, vcc_lo, v84, s1
	v_add_co_ci_u32_e32 v85, vcc_lo, s0, v85, vcc_lo
	s_waitcnt vmcnt(0)
	v_mul_f64 v[102:103], v[98:99], v[110:111]
	v_mul_f64 v[106:107], v[96:97], v[110:111]
	global_load_dwordx4 v[110:113], v[100:101], off offset:1552
	s_waitcnt vmcnt(0)
	buffer_store_dword v110, off, s[36:39], 0 ; 4-byte Folded Spill
	buffer_store_dword v111, off, s[36:39], 0 offset:4 ; 4-byte Folded Spill
	buffer_store_dword v112, off, s[36:39], 0 offset:8 ; 4-byte Folded Spill
	;; [unrolled: 1-line block ×3, first 2 shown]
	v_fma_f64 v[96:97], v[96:97], v[108:109], v[102:103]
	global_load_dwordx4 v[100:103], v[84:85], off
	global_load_dwordx4 v[118:121], v[104:105], off offset:1344
	v_fma_f64 v[98:99], v[98:99], v[108:109], -v[106:107]
	v_add_co_u32 v84, vcc_lo, v84, s1
	v_add_co_ci_u32_e32 v85, vcc_lo, s0, v85, vcc_lo
	s_waitcnt vmcnt(0)
	buffer_store_dword v118, off, s[36:39], 0 offset:16 ; 4-byte Folded Spill
	buffer_store_dword v119, off, s[36:39], 0 offset:20 ; 4-byte Folded Spill
	;; [unrolled: 1-line block ×4, first 2 shown]
	v_mul_f64 v[106:107], v[102:103], v[112:113]
	v_mul_f64 v[108:109], v[100:101], v[112:113]
	v_fma_f64 v[100:101], v[100:101], v[110:111], v[106:107]
	global_load_dwordx4 v[104:107], v[84:85], off
	v_fma_f64 v[102:103], v[102:103], v[110:111], -v[108:109]
	v_add_co_u32 v84, vcc_lo, v84, s1
	v_add_co_ci_u32_e32 v85, vcc_lo, s0, v85, vcc_lo
	s_waitcnt vmcnt(0)
	v_mul_f64 v[108:109], v[106:107], v[120:121]
	v_mul_f64 v[110:111], v[104:105], v[120:121]
	v_fma_f64 v[104:105], v[104:105], v[118:119], v[108:109]
	v_add_co_u32 v108, vcc_lo, 0x7000, v154
	v_add_co_ci_u32_e32 v109, vcc_lo, 0, v251, vcc_lo
	v_fma_f64 v[106:107], v[106:107], v[118:119], -v[110:111]
	global_load_dwordx4 v[120:123], v[108:109], off offset:1136
	s_waitcnt vmcnt(0)
	buffer_store_dword v120, off, s[36:39], 0 offset:48 ; 4-byte Folded Spill
	buffer_store_dword v121, off, s[36:39], 0 offset:52 ; 4-byte Folded Spill
	;; [unrolled: 1-line block ×4, first 2 shown]
	global_load_dwordx4 v[108:111], v[84:85], off
	v_add_co_u32 v84, vcc_lo, v84, s1
	v_add_co_ci_u32_e32 v85, vcc_lo, s0, v85, vcc_lo
	s_waitcnt vmcnt(0)
	v_mul_f64 v[112:113], v[110:111], v[122:123]
	v_mul_f64 v[118:119], v[108:109], v[122:123]
	v_fma_f64 v[108:109], v[108:109], v[120:121], v[112:113]
	v_add_co_u32 v112, vcc_lo, 0x8000, v154
	v_add_co_ci_u32_e32 v113, vcc_lo, 0, v251, vcc_lo
	v_fma_f64 v[110:111], v[110:111], v[120:121], -v[118:119]
	global_load_dwordx4 v[124:127], v[112:113], off offset:928
	s_waitcnt vmcnt(0)
	buffer_store_dword v124, off, s[36:39], 0 offset:64 ; 4-byte Folded Spill
	buffer_store_dword v125, off, s[36:39], 0 offset:68 ; 4-byte Folded Spill
	buffer_store_dword v126, off, s[36:39], 0 offset:72 ; 4-byte Folded Spill
	buffer_store_dword v127, off, s[36:39], 0 offset:76 ; 4-byte Folded Spill
	global_load_dwordx4 v[118:121], v[84:85], off
	v_add_co_u32 v84, vcc_lo, v84, s1
	v_add_co_ci_u32_e32 v85, vcc_lo, s0, v85, vcc_lo
	s_waitcnt vmcnt(0)
	v_mul_f64 v[112:113], v[120:121], v[126:127]
	v_mul_f64 v[122:123], v[118:119], v[126:127]
	v_fma_f64 v[118:119], v[118:119], v[124:125], v[112:113]
	v_add_co_u32 v112, vcc_lo, 0x9000, v154
	v_add_co_ci_u32_e32 v113, vcc_lo, 0, v251, vcc_lo
	buffer_store_dword v112, off, s[36:39], 0 offset:1676 ; 4-byte Folded Spill
	buffer_store_dword v113, off, s[36:39], 0 offset:1680 ; 4-byte Folded Spill
	v_fma_f64 v[120:121], v[120:121], v[124:125], -v[122:123]
	v_cmp_gt_u16_e32 vcc_lo, 9, v196
	global_load_dwordx4 v[122:125], v[84:85], off
	global_load_dwordx4 v[126:129], v[112:113], off offset:720
	s_waitcnt vmcnt(0)
	buffer_store_dword v126, off, s[36:39], 0 offset:120 ; 4-byte Folded Spill
	buffer_store_dword v127, off, s[36:39], 0 offset:124 ; 4-byte Folded Spill
	;; [unrolled: 1-line block ×4, first 2 shown]
	v_mul_f64 v[84:85], v[124:125], v[128:129]
	v_mul_f64 v[112:113], v[122:123], v[128:129]
	v_fma_f64 v[122:123], v[122:123], v[126:127], v[84:85]
	v_fma_f64 v[124:125], v[124:125], v[126:127], -v[112:113]
	ds_write_b128 v86, v[20:23]
	ds_write_b128 v86, v[24:27] offset:3888
	ds_write_b128 v86, v[28:31] offset:7776
	;; [unrolled: 1-line block ×29, first 2 shown]
	s_load_dwordx4 s[0:3], s[2:3], 0x0
	s_waitcnt lgkmcnt(0)
	s_waitcnt_vscnt null, 0x0
	s_barrier
	buffer_gl0_inv
	ds_read_b128 v[0:3], v86 offset:15552
	ds_read_b128 v[4:7], v86 offset:23328
	ds_read_b128 v[8:11], v86
	s_waitcnt lgkmcnt(1)
	v_add_f64 v[12:13], v[0:1], v[4:5]
	v_add_f64 v[52:53], v[2:3], -v[6:7]
	v_add_f64 v[54:55], v[0:1], -v[4:5]
	s_waitcnt lgkmcnt(0)
	v_fma_f64 v[44:45], v[12:13], -0.5, v[8:9]
	ds_read_b128 v[12:15], v86 offset:7776
	ds_read_b128 v[16:19], v86 offset:31104
	s_waitcnt lgkmcnt(1)
	v_add_f64 v[28:29], v[0:1], -v[12:13]
	s_waitcnt lgkmcnt(0)
	v_add_f64 v[20:21], v[12:13], v[16:17]
	v_add_f64 v[22:23], v[14:15], -v[2:3]
	v_add_f64 v[30:31], v[2:3], -v[14:15]
	;; [unrolled: 1-line block ×8, first 2 shown]
	v_fma_f64 v[36:37], v[20:21], -0.5, v[8:9]
	v_add_f64 v[20:21], v[2:3], v[6:7]
	v_add_f64 v[8:9], v[8:9], v[12:13]
	v_fma_f64 v[46:47], v[20:21], -0.5, v[10:11]
	v_add_f64 v[20:21], v[14:15], v[18:19]
	v_add_f64 v[8:9], v[8:9], v[0:1]
	v_fma_f64 v[38:39], v[20:21], -0.5, v[10:11]
	v_add_f64 v[10:11], v[10:11], v[14:15]
	v_add_f64 v[20:21], v[12:13], -v[0:1]
	v_add_f64 v[0:1], v[8:9], v[4:5]
	v_add_f64 v[10:11], v[10:11], v[2:3]
	;; [unrolled: 1-line block ×5, first 2 shown]
	ds_read_b128 v[0:3], v86 offset:19440
	ds_read_b128 v[8:11], v86 offset:27216
	;; [unrolled: 1-line block ×3, first 2 shown]
	s_waitcnt lgkmcnt(1)
	v_add_f64 v[16:17], v[0:1], v[8:9]
	v_add_f64 v[42:43], v[2:3], v[10:11]
	v_add_f64 v[66:67], v[2:3], -v[10:11]
	v_add_f64 v[64:65], v[0:1], -v[8:9]
	s_waitcnt lgkmcnt(0)
	v_fma_f64 v[56:57], v[16:17], -0.5, v[12:13]
	ds_read_b128 v[16:19], v86 offset:11664
	ds_read_b128 v[87:90], v86 offset:34992
	v_fma_f64 v[58:59], v[42:43], -0.5, v[14:15]
	s_waitcnt lgkmcnt(1)
	v_add_f64 v[76:77], v[16:17], -v[0:1]
	s_waitcnt lgkmcnt(0)
	v_add_f64 v[40:41], v[16:17], v[87:88]
	v_add_f64 v[42:43], v[18:19], v[89:90]
	v_add_f64 v[68:69], v[0:1], -v[16:17]
	v_add_f64 v[78:79], v[18:19], -v[2:3]
	;; [unrolled: 1-line block ×9, first 2 shown]
	v_fma_f64 v[40:41], v[40:41], -0.5, v[12:13]
	v_fma_f64 v[42:43], v[42:43], -0.5, v[14:15]
	v_add_f64 v[12:13], v[12:13], v[16:17]
	v_add_f64 v[14:15], v[14:15], v[18:19]
	;; [unrolled: 1-line block ×12, first 2 shown]
	ds_read_b128 v[0:3], v86 offset:16848
	ds_read_b128 v[12:15], v86 offset:24624
	;; [unrolled: 1-line block ×5, first 2 shown]
	s_waitcnt lgkmcnt(3)
	v_add_f64 v[84:85], v[0:1], v[12:13]
	s_waitcnt lgkmcnt(1)
	v_add_f64 v[162:163], v[90:91], -v[0:1]
	s_waitcnt lgkmcnt(0)
	v_add_f64 v[87:88], v[90:91], v[96:97]
	v_add_f64 v[150:151], v[0:1], -v[90:91]
	v_add_f64 v[164:165], v[92:93], -v[2:3]
	v_add_f64 v[152:153], v[2:3], -v[92:93]
	v_add_f64 v[94:95], v[0:1], -v[12:13]
	v_add_f64 v[170:171], v[96:97], -v[12:13]
	v_add_f64 v[158:159], v[12:13], -v[96:97]
	v_add_f64 v[172:173], v[98:99], -v[14:15]
	v_add_f64 v[160:161], v[14:15], -v[98:99]
	v_fma_f64 v[84:85], v[84:85], -0.5, v[16:17]
	v_fma_f64 v[142:143], v[87:88], -0.5, v[16:17]
	v_add_f64 v[87:88], v[2:3], v[14:15]
	v_add_f64 v[16:17], v[16:17], v[90:91]
	v_add_f64 v[90:91], v[90:91], -v[96:97]
	v_add_f64 v[162:163], v[162:163], v[170:171]
	v_add_f64 v[164:165], v[164:165], v[172:173]
	v_fma_f64 v[194:195], v[87:88], -0.5, v[18:19]
	v_add_f64 v[87:88], v[92:93], v[98:99]
	v_add_f64 v[16:17], v[16:17], v[0:1]
	v_fma_f64 v[144:145], v[87:88], -0.5, v[18:19]
	v_add_f64 v[18:19], v[18:19], v[92:93]
	v_add_f64 v[88:89], v[92:93], -v[98:99]
	v_add_f64 v[92:93], v[2:3], -v[14:15]
	v_add_f64 v[0:1], v[16:17], v[12:13]
	v_add_f64 v[18:19], v[18:19], v[2:3]
	;; [unrolled: 1-line block ×5, first 2 shown]
	ds_read_b128 v[0:3], v86 offset:20736
	ds_read_b128 v[12:15], v86 offset:28512
	;; [unrolled: 1-line block ×5, first 2 shown]
	s_waitcnt lgkmcnt(3)
	v_add_f64 v[96:97], v[0:1], v[12:13]
	s_waitcnt lgkmcnt(1)
	v_add_f64 v[178:179], v[102:103], -v[0:1]
	s_waitcnt lgkmcnt(0)
	v_add_f64 v[98:99], v[102:103], v[108:109]
	v_add_f64 v[100:101], v[104:105], v[110:111]
	v_add_f64 v[166:167], v[0:1], -v[102:103]
	v_add_f64 v[180:181], v[104:105], -v[2:3]
	;; [unrolled: 1-line block ×8, first 2 shown]
	v_fma_f64 v[96:97], v[96:97], -0.5, v[16:17]
	v_fma_f64 v[146:147], v[98:99], -0.5, v[16:17]
	v_add_f64 v[98:99], v[2:3], v[14:15]
	v_fma_f64 v[148:149], v[100:101], -0.5, v[18:19]
	v_add_f64 v[16:17], v[16:17], v[102:103]
	v_add_f64 v[100:101], v[104:105], -v[110:111]
	v_add_f64 v[102:103], v[102:103], -v[108:109]
	v_add_f64 v[172:173], v[178:179], v[182:183]
	v_add_f64 v[170:171], v[180:181], v[184:185]
	v_fma_f64 v[98:99], v[98:99], -0.5, v[18:19]
	v_add_f64 v[18:19], v[18:19], v[104:105]
	v_add_f64 v[16:17], v[16:17], v[0:1]
	v_add_f64 v[104:105], v[0:1], -v[12:13]
	v_add_f64 v[18:19], v[18:19], v[2:3]
	v_add_f64 v[0:1], v[16:17], v[12:13]
	v_add_f64 v[2:3], v[18:19], v[14:15]
	v_add_f64 v[190:191], v[0:1], v[108:109]
	v_add_f64 v[192:193], v[2:3], v[110:111]
	ds_read_b128 v[0:3], v86 offset:2592
	ds_read_b128 v[12:15], v86 offset:10368
	;; [unrolled: 1-line block ×4, first 2 shown]
	s_waitcnt lgkmcnt(2)
	v_add_f64 v[108:109], v[0:1], v[12:13]
	s_waitcnt lgkmcnt(1)
	v_add_f64 v[122:123], v[12:13], -v[16:17]
	s_waitcnt lgkmcnt(0)
	v_add_f64 v[138:139], v[16:17], v[126:127]
	v_add_f64 v[118:119], v[16:17], -v[12:13]
	v_add_f64 v[140:141], v[18:19], v[128:129]
	v_add_f64 v[110:111], v[16:17], -v[126:127]
	v_add_f64 v[124:125], v[14:15], -v[18:19]
	v_add_f64 v[120:121], v[18:19], -v[14:15]
	v_add_f64 v[130:131], v[108:109], v[16:17]
	v_add_f64 v[108:109], v[2:3], v[14:15]
	;; [unrolled: 1-line block ×3, first 2 shown]
	v_add_f64 v[108:109], v[18:19], -v[128:129]
	ds_read_b128 v[16:19], v86 offset:33696
	s_waitcnt lgkmcnt(0)
	v_add_f64 v[112:113], v[12:13], v[16:17]
	v_add_f64 v[116:117], v[12:13], -v[16:17]
	v_add_f64 v[12:13], v[130:131], v[126:127]
	v_add_f64 v[114:115], v[14:15], -v[18:19]
	v_add_f64 v[156:157], v[14:15], v[18:19]
	v_add_f64 v[14:15], v[132:133], v[128:129]
	v_add_f64 v[130:131], v[16:17], -v[126:127]
	v_add_f64 v[126:127], v[126:127], -v[16:17]
	;; [unrolled: 1-line block ×4, first 2 shown]
	v_add_f64 v[136:137], v[12:13], v[16:17]
	v_add_f64 v[16:17], v[4:5], v[8:9]
	v_add_f64 v[12:13], v[4:5], -v[8:9]
	v_add_f64 v[8:9], v[186:187], v[190:191]
	v_add_f64 v[4:5], v[186:187], -v[190:191]
	v_add_f64 v[186:187], v[20:21], v[24:25]
	v_fma_f64 v[20:21], v[60:61], s[18:19], v[56:57]
	v_add_f64 v[134:135], v[14:15], v[18:19]
	v_add_f64 v[18:19], v[6:7], v[10:11]
	v_add_f64 v[14:15], v[6:7], -v[10:11]
	v_add_f64 v[10:11], v[188:189], v[192:193]
	v_add_f64 v[6:7], v[188:189], -v[192:193]
	v_add_f64 v[188:189], v[22:23], v[26:27]
	v_fma_f64 v[22:23], v[62:63], s[20:21], v[58:59]
	v_fma_f64 v[56:57], v[60:61], s[20:21], v[56:57]
	v_add_f64 v[130:131], v[122:123], v[130:131]
	v_add_f64 v[132:133], v[124:125], v[132:133]
	;; [unrolled: 1-line block ×4, first 2 shown]
	v_fma_f64 v[20:21], v[66:67], s[12:13], v[20:21]
	v_fma_f64 v[22:23], v[64:65], s[16:17], v[22:23]
	;; [unrolled: 1-line block ×4, first 2 shown]
	v_mul_f64 v[24:25], v[20:21], s[22:23]
	v_mul_f64 v[20:21], v[20:21], s[16:17]
	v_fma_f64 v[80:81], v[22:23], s[12:13], v[24:25]
	v_fma_f64 v[22:23], v[22:23], s[22:23], v[20:21]
	;; [unrolled: 1-line block ×14, first 2 shown]
	v_add_f64 v[24:25], v[20:21], v[80:81]
	v_add_f64 v[20:21], v[20:21], -v[80:81]
	v_add_f64 v[80:81], v[28:29], v[32:33]
	v_fma_f64 v[28:29], v[64:65], s[18:19], v[42:43]
	v_add_f64 v[26:27], v[82:83], v[22:23]
	v_add_f64 v[22:23], v[82:83], -v[22:23]
	v_add_f64 v[82:83], v[30:31], v[34:35]
	v_fma_f64 v[30:31], v[66:67], s[20:21], v[40:41]
	v_fma_f64 v[40:41], v[66:67], s[18:19], v[40:41]
	v_fma_f64 v[42:43], v[64:65], s[20:21], v[42:43]
	v_fma_f64 v[28:29], v[62:63], s[16:17], v[28:29]
	v_fma_f64 v[30:31], v[60:61], s[12:13], v[30:31]
	v_fma_f64 v[40:41], v[60:61], s[16:17], v[40:41]
	v_fma_f64 v[42:43], v[62:63], s[12:13], v[42:43]
	v_fma_f64 v[28:29], v[70:71], s[14:15], v[28:29]
	v_fma_f64 v[30:31], v[68:69], s[14:15], v[30:31]
	v_fma_f64 v[40:41], v[68:69], s[14:15], v[40:41]
	v_fma_f64 v[42:43], v[70:71], s[14:15], v[42:43]
	v_mul_f64 v[32:33], v[28:29], s[18:19]
	v_mul_f64 v[68:69], v[40:41], s[24:25]
	v_fma_f64 v[72:73], v[30:31], s[14:15], v[32:33]
	v_mul_f64 v[30:31], v[30:31], s[20:21]
	v_fma_f64 v[32:33], v[54:55], s[18:19], v[38:39]
	v_fma_f64 v[38:39], v[54:55], s[20:21], v[38:39]
	;; [unrolled: 1-line block ×3, first 2 shown]
	v_mul_f64 v[42:43], v[42:43], s[24:25]
	v_fma_f64 v[30:31], v[28:29], s[14:15], v[30:31]
	v_fma_f64 v[28:29], v[52:53], s[20:21], v[36:37]
	;; [unrolled: 1-line block ×16, first 2 shown]
	v_add_f64 v[34:35], v[74:75], v[30:31]
	v_mul_f64 v[52:53], v[50:51], s[26:27]
	v_add_f64 v[30:31], v[74:75], -v[30:31]
	v_add_f64 v[74:75], v[168:169], v[176:177]
	v_add_f64 v[42:43], v[38:39], v[70:71]
	v_add_f64 v[38:39], v[38:39], -v[70:71]
	v_add_f64 v[70:71], v[152:153], v[160:161]
	v_add_f64 v[32:33], v[28:29], v[72:73]
	v_add_f64 v[28:29], v[28:29], -v[72:73]
	v_fma_f64 v[48:49], v[78:79], s[14:15], v[48:49]
	v_add_f64 v[72:73], v[166:167], v[174:175]
	v_add_f64 v[40:41], v[36:37], v[68:69]
	v_add_f64 v[36:37], v[36:37], -v[68:69]
	v_add_f64 v[68:69], v[150:151], v[158:159]
	v_fma_f64 v[52:53], v[48:49], s[12:13], v[52:53]
	v_mul_f64 v[48:49], v[48:49], s[26:27]
	v_fma_f64 v[54:55], v[50:51], s[16:17], v[48:49]
	v_add_f64 v[48:49], v[44:45], v[52:53]
	v_add_f64 v[44:45], v[44:45], -v[52:53]
	v_fma_f64 v[52:53], v[100:101], s[18:19], v[96:97]
	v_add_f64 v[50:51], v[46:47], v[54:55]
	v_add_f64 v[46:47], v[46:47], -v[54:55]
	v_fma_f64 v[54:55], v[102:103], s[20:21], v[98:99]
	v_fma_f64 v[52:53], v[106:107], s[12:13], v[52:53]
	;; [unrolled: 1-line block ×5, first 2 shown]
	v_mul_f64 v[56:57], v[52:53], s[22:23]
	v_mul_f64 v[52:53], v[52:53], s[16:17]
	v_fma_f64 v[60:61], v[54:55], s[12:13], v[56:57]
	v_fma_f64 v[54:55], v[54:55], s[22:23], v[52:53]
	;; [unrolled: 1-line block ×8, first 2 shown]
	v_add_f64 v[56:57], v[52:53], v[60:61]
	v_add_f64 v[52:53], v[52:53], -v[60:61]
	v_fma_f64 v[60:61], v[104:105], s[18:19], v[148:149]
	v_add_f64 v[58:59], v[62:63], v[54:55]
	v_add_f64 v[54:55], v[62:63], -v[54:55]
	v_fma_f64 v[62:63], v[106:107], s[20:21], v[146:147]
	v_fma_f64 v[60:61], v[102:103], s[16:17], v[60:61]
	;; [unrolled: 1-line block ×5, first 2 shown]
	v_mul_f64 v[64:65], v[60:61], s[18:19]
	v_fma_f64 v[76:77], v[62:63], s[14:15], v[64:65]
	v_mul_f64 v[62:63], v[62:63], s[20:21]
	v_fma_f64 v[64:65], v[94:95], s[18:19], v[144:145]
	v_fma_f64 v[62:63], v[60:61], s[14:15], v[62:63]
	;; [unrolled: 1-line block ×7, first 2 shown]
	v_add_f64 v[66:67], v[78:79], v[62:63]
	v_add_f64 v[62:63], v[78:79], -v[62:63]
	v_add_f64 v[64:65], v[60:61], v[76:77]
	v_add_f64 v[60:61], v[60:61], -v[76:77]
	v_fma_f64 v[76:77], v[92:93], s[18:19], v[142:143]
	v_fma_f64 v[76:77], v[88:89], s[16:17], v[76:77]
	;; [unrolled: 1-line block ×12, first 2 shown]
	v_mul_f64 v[76:77], v[72:73], s[24:25]
	v_fma_f64 v[76:77], v[74:75], s[18:19], v[76:77]
	v_mul_f64 v[74:75], v[74:75], s[24:25]
	v_fma_f64 v[78:79], v[72:73], s[20:21], v[74:75]
	v_add_f64 v[72:73], v[68:69], v[76:77]
	v_add_f64 v[68:69], v[68:69], -v[76:77]
	v_add_f64 v[74:75], v[70:71], v[78:79]
	v_add_f64 v[70:71], v[70:71], -v[78:79]
	ds_read_b128 v[76:79], v86 offset:6480
	ds_read_b128 v[80:83], v86 offset:14256
	;; [unrolled: 1-line block ×4, first 2 shown]
	s_waitcnt lgkmcnt(2)
	v_add_f64 v[142:143], v[76:77], v[80:81]
	s_waitcnt lgkmcnt(1)
	v_add_f64 v[176:177], v[80:81], -v[148:149]
	s_waitcnt lgkmcnt(0)
	v_add_f64 v[174:175], v[148:149], v[158:159]
	v_add_f64 v[146:147], v[148:149], -v[80:81]
	v_add_f64 v[178:179], v[150:151], v[160:161]
	v_add_f64 v[144:145], v[148:149], -v[158:159]
	v_add_f64 v[180:181], v[82:83], -v[150:151]
	v_add_f64 v[166:167], v[142:143], v[148:149]
	v_add_f64 v[142:143], v[78:79], v[82:83]
	v_add_f64 v[148:149], v[150:151], -v[82:83]
	v_add_f64 v[168:169], v[142:143], v[150:151]
	v_add_f64 v[142:143], v[150:151], -v[160:161]
	ds_read_b128 v[150:153], v86 offset:37584
	s_waitcnt lgkmcnt(0)
	v_add_f64 v[184:185], v[80:81], v[150:151]
	v_add_f64 v[186:187], v[80:81], -v[150:151]
	v_add_f64 v[80:81], v[166:167], v[158:159]
	v_add_f64 v[182:183], v[82:83], -v[152:153]
	v_add_f64 v[188:189], v[82:83], v[152:153]
	v_add_f64 v[82:83], v[168:169], v[160:161]
	v_add_f64 v[166:167], v[150:151], -v[158:159]
	v_add_f64 v[158:159], v[158:159], -v[150:151]
	;; [unrolled: 1-line block ×4, first 2 shown]
	v_add_f64 v[150:151], v[80:81], v[150:151]
	v_fma_f64 v[80:81], v[100:101], s[20:21], v[96:97]
	v_add_f64 v[152:153], v[82:83], v[152:153]
	v_fma_f64 v[82:83], v[88:89], s[20:21], v[84:85]
	v_fma_f64 v[87:88], v[102:103], s[18:19], v[98:99]
	v_fma_f64 v[84:85], v[90:91], s[18:19], v[194:195]
	v_fma_f64 v[99:100], v[112:113], -0.5, v[0:1]
	v_fma_f64 v[112:113], v[156:157], -0.5, v[2:3]
	;; [unrolled: 1-line block ×3, first 2 shown]
	v_add_f64 v[128:129], v[148:149], v[160:161]
	v_add_f64 v[126:127], v[146:147], v[158:159]
	v_fma_f64 v[80:81], v[106:107], s[16:17], v[80:81]
	v_fma_f64 v[106:107], v[140:141], -0.5, v[2:3]
	v_add_f64 v[2:3], v[134:135], v[152:153]
	v_fma_f64 v[82:83], v[92:93], s[16:17], v[82:83]
	v_fma_f64 v[87:88], v[104:105], s[12:13], v[87:88]
	;; [unrolled: 1-line block ×3, first 2 shown]
	v_fma_f64 v[140:141], v[184:185], -0.5, v[76:77]
	v_fma_f64 v[93:94], v[186:187], s[20:21], v[155:156]
	v_fma_f64 v[80:81], v[172:173], s[14:15], v[80:81]
	;; [unrolled: 1-line block ×5, first 2 shown]
	v_fma_f64 v[162:163], v[188:189], -0.5, v[78:79]
	v_add_f64 v[78:79], v[134:135], -v[152:153]
	v_add_f64 v[134:135], v[176:177], v[166:167]
	v_fma_f64 v[93:94], v[144:145], s[16:17], v[93:94]
	v_mul_f64 v[87:88], v[80:81], s[26:27]
	v_fma_f64 v[87:88], v[82:83], s[12:13], v[87:88]
	v_mul_f64 v[82:83], v[82:83], s[26:27]
	v_fma_f64 v[91:92], v[80:81], s[16:17], v[82:83]
	v_add_f64 v[80:81], v[89:90], v[87:88]
	v_add_f64 v[87:88], v[89:90], -v[87:88]
	v_add_f64 v[82:83], v[84:85], v[91:92]
	v_add_f64 v[89:90], v[84:85], -v[91:92]
	v_fma_f64 v[84:85], v[138:139], -0.5, v[0:1]
	v_fma_f64 v[138:139], v[174:175], -0.5, v[76:77]
	v_add_f64 v[0:1], v[136:137], v[150:151]
	v_add_f64 v[76:77], v[136:137], -v[150:151]
	v_add_f64 v[136:137], v[180:181], v[168:169]
	v_fma_f64 v[91:92], v[182:183], s[18:19], v[138:139]
	v_fma_f64 v[93:94], v[136:137], s[14:15], v[93:94]
	;; [unrolled: 1-line block ×4, first 2 shown]
	v_mul_f64 v[95:96], v[91:92], s[22:23]
	v_mul_f64 v[91:92], v[91:92], s[16:17]
	v_fma_f64 v[95:96], v[93:94], s[12:13], v[95:96]
	v_fma_f64 v[97:98], v[93:94], s[22:23], v[91:92]
	;; [unrolled: 1-line block ×13, first 2 shown]
	v_add_f64 v[91:92], v[101:102], v[95:96]
	v_add_f64 v[95:96], v[101:102], -v[95:96]
	v_fma_f64 v[101:102], v[144:145], s[18:19], v[162:163]
	v_add_f64 v[93:94], v[103:104], v[97:98]
	v_add_f64 v[97:98], v[103:104], -v[97:98]
	v_fma_f64 v[103:104], v[142:143], s[20:21], v[140:141]
	v_fma_f64 v[101:102], v[186:187], s[16:17], v[101:102]
	;; [unrolled: 1-line block ×5, first 2 shown]
	v_mul_f64 v[118:119], v[101:102], s[18:19]
	v_fma_f64 v[118:119], v[103:104], s[14:15], v[118:119]
	v_mul_f64 v[103:104], v[103:104], s[20:21]
	v_fma_f64 v[120:121], v[101:102], s[14:15], v[103:104]
	v_fma_f64 v[101:102], v[108:109], s[20:21], v[99:100]
	;; [unrolled: 1-line block ×16, first 2 shown]
	v_mov_b32_e32 v101, 4
	v_add_f64 v[102:103], v[146:147], v[118:119]
	v_add_f64 v[118:119], v[146:147], -v[118:119]
	v_fma_f64 v[122:123], v[182:183], s[16:17], v[122:123]
	v_add_f64 v[104:105], v[148:149], v[120:121]
	v_add_f64 v[120:121], v[148:149], -v[120:121]
	v_fma_f64 v[124:125], v[186:187], s[12:13], v[124:125]
	v_fma_f64 v[122:123], v[126:127], s[14:15], v[122:123]
	;; [unrolled: 1-line block ×3, first 2 shown]
	v_mul_f64 v[126:127], v[122:123], s[24:25]
	v_fma_f64 v[126:127], v[124:125], s[18:19], v[126:127]
	v_mul_f64 v[124:125], v[124:125], s[24:25]
	v_fma_f64 v[128:129], v[122:123], s[20:21], v[124:125]
	v_add_f64 v[122:123], v[99:100], v[126:127]
	v_add_f64 v[126:127], v[99:100], -v[126:127]
	v_fma_f64 v[99:100], v[182:183], s[20:21], v[138:139]
	v_add_f64 v[124:125], v[112:113], v[128:129]
	v_add_f64 v[128:129], v[112:113], -v[128:129]
	v_fma_f64 v[112:113], v[186:187], s[18:19], v[155:156]
	v_fma_f64 v[99:100], v[142:143], s[16:17], v[99:100]
	;; [unrolled: 1-line block ×5, first 2 shown]
	v_mul_f64 v[108:109], v[99:100], s[26:27]
	v_fma_f64 v[112:113], v[106:107], s[12:13], v[108:109]
	v_mul_f64 v[106:107], v[106:107], s[26:27]
	v_add_f64 v[114:115], v[84:85], -v[112:113]
	v_fma_f64 v[99:100], v[99:100], s[16:17], v[106:107]
	v_add_f64 v[106:107], v[84:85], v[112:113]
	v_mul_lo_u16 v84, v196, 10
	v_add_co_u32 v85, null, 0x2d9, v197
	v_lshlrev_b32_sdwa v84, v101, v84 dst_sel:DWORD dst_unused:UNUSED_PAD src0_sel:DWORD src1_sel:WORD_0
	buffer_store_dword v84, off, s[36:39], 0 offset:1372 ; 4-byte Folded Spill
	s_waitcnt_vscnt null, 0x0
	s_barrier
	buffer_gl0_inv
	ds_write_b128 v84, v[16:19]
	ds_write_b128 v84, v[24:27] offset:16
	ds_write_b128 v84, v[32:35] offset:32
	;; [unrolled: 1-line block ×9, first 2 shown]
	v_add_co_u32 v12, s29, 0x51, v197
	v_mul_u32_u24_e32 v13, 10, v12
	v_add_f64 v[108:109], v[110:111], v[99:100]
	v_add_f64 v[116:117], v[110:111], -v[99:100]
	v_and_b32_e32 v140, 0xff, v12
	v_add_co_u32 v100, s28, 0xf3, v197
	v_lshlrev_b32_e32 v13, 4, v13
	v_add_co_u32 v99, null, 0x144, v197
	buffer_store_dword v13, off, s[36:39], 0 offset:1312 ; 4-byte Folded Spill
	ds_write_b128 v13, v[8:11]
	ds_write_b128 v13, v[56:59] offset:16
	ds_write_b128 v13, v[64:67] offset:32
	;; [unrolled: 1-line block ×9, first 2 shown]
	v_add_co_u32 v10, null, 0xa2, v197
	v_and_b32_e32 v11, 0xff, v196
	v_mul_u32_u24_e32 v4, 10, v10
	v_lshlrev_b32_e32 v4, 4, v4
	buffer_store_dword v4, off, s[36:39], 0 offset:1244 ; 4-byte Folded Spill
	ds_write_b128 v4, v[0:3]
	ds_write_b128 v4, v[91:94] offset:16
	ds_write_b128 v4, v[102:105] offset:32
	;; [unrolled: 1-line block ×9, first 2 shown]
	v_mul_lo_u16 v0, 0xcd, v11
	s_waitcnt lgkmcnt(0)
	s_waitcnt_vscnt null, 0x0
	s_barrier
	buffer_gl0_inv
	v_add_co_u32 v98, null, 0x195, v197
	v_lshrrev_b16 v138, 11, v0
	v_add_co_u32 v97, null, 0x1e6, v197
	v_add_co_u32 v96, null, 0x237, v197
	v_mul_lo_u16 v0, v138, 10
	v_add_co_u32 v95, null, 0x288, v197
	v_sub_nc_u16 v0, v196, v0
	v_and_b32_e32 v139, 0xff, v0
	v_lshlrev_b32_e32 v8, 5, v139
	global_load_dwordx4 v[13:16], v8, s[10:11]
	s_waitcnt vmcnt(0)
	buffer_store_dword v13, off, s[36:39], 0 offset:1212 ; 4-byte Folded Spill
	buffer_store_dword v14, off, s[36:39], 0 offset:1216 ; 4-byte Folded Spill
	;; [unrolled: 1-line block ×4, first 2 shown]
	ds_read_b128 v[0:3], v86 offset:12960
	s_waitcnt lgkmcnt(0)
	v_mul_f64 v[4:5], v[2:3], v[15:16]
	v_fma_f64 v[4:5], v[0:1], v[13:14], -v[4:5]
	v_mul_f64 v[0:1], v[0:1], v[15:16]
	global_load_dwordx4 v[15:18], v8, s[10:11] offset:16
	s_waitcnt vmcnt(0)
	buffer_store_dword v15, off, s[36:39], 0 offset:1228 ; 4-byte Folded Spill
	buffer_store_dword v16, off, s[36:39], 0 offset:1232 ; 4-byte Folded Spill
	buffer_store_dword v17, off, s[36:39], 0 offset:1236 ; 4-byte Folded Spill
	buffer_store_dword v18, off, s[36:39], 0 offset:1240 ; 4-byte Folded Spill
	v_fma_f64 v[6:7], v[2:3], v[13:14], v[0:1]
	ds_read_b128 v[0:3], v86 offset:25920
	s_waitcnt lgkmcnt(0)
	v_mul_f64 v[8:9], v[2:3], v[17:18]
	v_fma_f64 v[13:14], v[0:1], v[15:16], -v[8:9]
	v_mul_f64 v[0:1], v[0:1], v[17:18]
	v_fma_f64 v[15:16], v[2:3], v[15:16], v[0:1]
	v_mul_lo_u16 v0, 0xcd, v140
	v_lshrrev_b16 v141, 11, v0
	v_mul_lo_u16 v0, v141, 10
	v_sub_nc_u16 v0, v12, v0
	v_and_b32_e32 v142, 0xff, v0
	v_lshlrev_b32_e32 v17, 5, v142
	global_load_dwordx4 v[23:26], v17, s[10:11]
	s_waitcnt vmcnt(0)
	buffer_store_dword v23, off, s[36:39], 0 offset:1196 ; 4-byte Folded Spill
	buffer_store_dword v24, off, s[36:39], 0 offset:1200 ; 4-byte Folded Spill
	;; [unrolled: 1-line block ×4, first 2 shown]
	global_load_dwordx4 v[17:20], v17, s[10:11] offset:16
	ds_read_b128 v[0:3], v86 offset:14256
	s_waitcnt vmcnt(0)
	buffer_store_dword v17, off, s[36:39], 0 offset:1132 ; 4-byte Folded Spill
	buffer_store_dword v18, off, s[36:39], 0 offset:1136 ; 4-byte Folded Spill
	;; [unrolled: 1-line block ×4, first 2 shown]
	s_waitcnt lgkmcnt(0)
	v_mul_f64 v[8:9], v[2:3], v[25:26]
	v_fma_f64 v[21:22], v[0:1], v[23:24], -v[8:9]
	v_mul_f64 v[0:1], v[0:1], v[25:26]
	v_fma_f64 v[23:24], v[2:3], v[23:24], v[0:1]
	ds_read_b128 v[0:3], v86 offset:27216
	s_waitcnt lgkmcnt(0)
	v_mul_f64 v[8:9], v[2:3], v[19:20]
	v_fma_f64 v[25:26], v[0:1], v[17:18], -v[8:9]
	v_mul_f64 v[0:1], v[0:1], v[19:20]
	v_and_b32_e32 v8, 0xff, v10
	v_fma_f64 v[27:28], v[2:3], v[17:18], v[0:1]
	v_mul_lo_u16 v0, 0xcd, v8
	v_lshrrev_b16 v9, 11, v0
	v_mul_lo_u16 v0, v9, 10
	v_sub_nc_u16 v0, v10, v0
	v_and_b32_e32 v143, 0xff, v0
	v_lshlrev_b32_e32 v19, 5, v143
	global_load_dwordx4 v[29:32], v19, s[10:11]
	s_waitcnt vmcnt(0)
	buffer_store_dword v29, off, s[36:39], 0 offset:1164 ; 4-byte Folded Spill
	buffer_store_dword v30, off, s[36:39], 0 offset:1168 ; 4-byte Folded Spill
	;; [unrolled: 1-line block ×4, first 2 shown]
	ds_read_b128 v[0:3], v86 offset:15552
	s_waitcnt lgkmcnt(0)
	v_mul_f64 v[17:18], v[2:3], v[31:32]
	v_fma_f64 v[33:34], v[0:1], v[29:30], -v[17:18]
	v_mul_f64 v[0:1], v[0:1], v[31:32]
	v_fma_f64 v[35:36], v[2:3], v[29:30], v[0:1]
	global_load_dwordx4 v[29:32], v19, s[10:11] offset:16
	v_mov_b32_e32 v19, 0xcccd
	s_waitcnt vmcnt(0)
	buffer_store_dword v29, off, s[36:39], 0 offset:1180 ; 4-byte Folded Spill
	buffer_store_dword v30, off, s[36:39], 0 offset:1184 ; 4-byte Folded Spill
	buffer_store_dword v31, off, s[36:39], 0 offset:1188 ; 4-byte Folded Spill
	buffer_store_dword v32, off, s[36:39], 0 offset:1192 ; 4-byte Folded Spill
	ds_read_b128 v[0:3], v86 offset:28512
	s_waitcnt lgkmcnt(0)
	v_mul_f64 v[17:18], v[2:3], v[31:32]
	v_fma_f64 v[37:38], v[0:1], v[29:30], -v[17:18]
	v_mul_f64 v[0:1], v[0:1], v[31:32]
	v_add_f64 v[41:42], v[33:34], v[37:38]
	v_fma_f64 v[39:40], v[2:3], v[29:30], v[0:1]
	v_mul_u32_u24_sdwa v0, v100, v19 dst_sel:DWORD dst_unused:UNUSED_PAD src0_sel:WORD_0 src1_sel:DWORD
	v_lshrrev_b32_e32 v144, 19, v0
	v_mul_lo_u16 v0, v144, 10
	v_sub_nc_u16 v145, v100, v0
	v_lshlrev_b16 v0, 1, v145
	v_add_f64 v[43:44], v[35:36], v[39:40]
	v_lshlrev_b32_sdwa v20, v101, v0 dst_sel:DWORD dst_unused:UNUSED_PAD src0_sel:DWORD src1_sel:WORD_0
	global_load_dwordx4 v[29:32], v20, s[10:11]
	s_waitcnt vmcnt(0)
	buffer_store_dword v29, off, s[36:39], 0 offset:1148 ; 4-byte Folded Spill
	buffer_store_dword v30, off, s[36:39], 0 offset:1152 ; 4-byte Folded Spill
	buffer_store_dword v31, off, s[36:39], 0 offset:1156 ; 4-byte Folded Spill
	buffer_store_dword v32, off, s[36:39], 0 offset:1160 ; 4-byte Folded Spill
	ds_read_b128 v[0:3], v86 offset:16848
	s_waitcnt lgkmcnt(0)
	v_mul_f64 v[17:18], v[2:3], v[31:32]
	v_fma_f64 v[45:46], v[0:1], v[29:30], -v[17:18]
	v_mul_f64 v[0:1], v[0:1], v[31:32]
	v_fma_f64 v[47:48], v[2:3], v[29:30], v[0:1]
	global_load_dwordx4 v[29:32], v20, s[10:11] offset:16
	s_waitcnt vmcnt(0)
	buffer_store_dword v29, off, s[36:39], 0 offset:1068 ; 4-byte Folded Spill
	buffer_store_dword v30, off, s[36:39], 0 offset:1072 ; 4-byte Folded Spill
	buffer_store_dword v31, off, s[36:39], 0 offset:1076 ; 4-byte Folded Spill
	buffer_store_dword v32, off, s[36:39], 0 offset:1080 ; 4-byte Folded Spill
	ds_read_b128 v[0:3], v86 offset:29808
	s_waitcnt lgkmcnt(0)
	v_mul_f64 v[17:18], v[2:3], v[31:32]
	v_fma_f64 v[49:50], v[0:1], v[29:30], -v[17:18]
	v_mul_f64 v[0:1], v[0:1], v[31:32]
	v_add_f64 v[53:54], v[45:46], v[49:50]
	v_fma_f64 v[51:52], v[2:3], v[29:30], v[0:1]
	v_mul_u32_u24_sdwa v0, v99, v19 dst_sel:DWORD dst_unused:UNUSED_PAD src0_sel:WORD_0 src1_sel:DWORD
	v_lshrrev_b32_e32 v146, 19, v0
	v_mul_lo_u16 v0, v146, 10
	v_sub_nc_u16 v147, v99, v0
	v_lshlrev_b16 v0, 1, v147
	v_add_f64 v[55:56], v[47:48], v[51:52]
	v_lshlrev_b32_sdwa v20, v101, v0 dst_sel:DWORD dst_unused:UNUSED_PAD src0_sel:DWORD src1_sel:WORD_0
	global_load_dwordx4 v[29:32], v20, s[10:11]
	s_waitcnt vmcnt(0)
	buffer_store_dword v29, off, s[36:39], 0 offset:1100 ; 4-byte Folded Spill
	buffer_store_dword v30, off, s[36:39], 0 offset:1104 ; 4-byte Folded Spill
	buffer_store_dword v31, off, s[36:39], 0 offset:1108 ; 4-byte Folded Spill
	buffer_store_dword v32, off, s[36:39], 0 offset:1112 ; 4-byte Folded Spill
	ds_read_b128 v[0:3], v86 offset:18144
	s_waitcnt lgkmcnt(0)
	v_mul_f64 v[17:18], v[2:3], v[31:32]
	v_fma_f64 v[57:58], v[0:1], v[29:30], -v[17:18]
	v_mul_f64 v[0:1], v[0:1], v[31:32]
	v_fma_f64 v[59:60], v[2:3], v[29:30], v[0:1]
	global_load_dwordx4 v[29:32], v20, s[10:11] offset:16
	;; [unrolled: 32-line block ×7, first 2 shown]
	v_add_f64 v[19:20], v[6:7], v[15:16]
	s_waitcnt vmcnt(0)
	buffer_store_dword v29, off, s[36:39], 0 offset:924 ; 4-byte Folded Spill
	buffer_store_dword v30, off, s[36:39], 0 offset:928 ; 4-byte Folded Spill
	;; [unrolled: 1-line block ×4, first 2 shown]
	ds_read_b128 v[0:3], v86 offset:37584
	ds_read_b128 v[126:129], v86 offset:11664
	s_waitcnt lgkmcnt(1)
	v_mul_f64 v[17:18], v[2:3], v[31:32]
	v_fma_f64 v[134:135], v[0:1], v[29:30], -v[17:18]
	v_mul_f64 v[0:1], v[0:1], v[31:32]
	v_add_f64 v[17:18], v[4:5], v[13:14]
	v_add_f64 v[31:32], v[23:24], v[27:28]
	v_fma_f64 v[136:137], v[2:3], v[29:30], v[0:1]
	ds_read_b128 v[0:3], v86
	v_add_f64 v[29:30], v[21:22], v[25:26]
	s_waitcnt lgkmcnt(0)
	v_fma_f64 v[19:20], v[19:20], -0.5, v[2:3]
	v_add_f64 v[2:3], v[2:3], v[6:7]
	v_fma_f64 v[17:18], v[17:18], -0.5, v[0:1]
	v_add_f64 v[0:1], v[0:1], v[4:5]
	v_add_f64 v[6:7], v[6:7], -v[15:16]
	v_add_f64 v[2:3], v[2:3], v[15:16]
	v_add_f64 v[15:16], v[4:5], -v[13:14]
	v_add_f64 v[0:1], v[0:1], v[13:14]
	v_fma_f64 v[4:5], v[6:7], s[8:9], v[17:18]
	v_fma_f64 v[13:14], v[6:7], s[6:7], v[17:18]
	v_fma_f64 v[6:7], v[15:16], s[6:7], v[19:20]
	v_fma_f64 v[15:16], v[15:16], s[8:9], v[19:20]
	ds_read_b128 v[17:20], v86 offset:1296
	s_waitcnt lgkmcnt(0)
	v_fma_f64 v[31:32], v[31:32], -0.5, v[19:20]
	v_add_f64 v[19:20], v[19:20], v[23:24]
	v_fma_f64 v[29:30], v[29:30], -0.5, v[17:18]
	v_add_f64 v[17:18], v[17:18], v[21:22]
	v_add_f64 v[23:24], v[23:24], -v[27:28]
	v_add_f64 v[19:20], v[19:20], v[27:28]
	v_add_f64 v[27:28], v[21:22], -v[25:26]
	v_add_f64 v[17:18], v[17:18], v[25:26]
	v_fma_f64 v[21:22], v[23:24], s[8:9], v[29:30]
	v_fma_f64 v[25:26], v[23:24], s[6:7], v[29:30]
	v_fma_f64 v[23:24], v[27:28], s[6:7], v[31:32]
	v_fma_f64 v[27:28], v[27:28], s[8:9], v[31:32]
	ds_read_b128 v[29:32], v86 offset:2592
	;; [unrolled: 14-line block ×8, first 2 shown]
	s_waitcnt lgkmcnt(0)
	v_fma_f64 v[122:123], v[122:123], -0.5, v[114:115]
	v_fma_f64 v[124:125], v[124:125], -0.5, v[116:117]
	v_add_f64 v[116:117], v[116:117], v[112:113]
	v_add_f64 v[114:115], v[114:115], v[110:111]
	v_add_f64 v[112:113], v[112:113], -v[120:121]
	v_add_f64 v[110:111], v[110:111], -v[118:119]
	v_add_f64 v[116:117], v[116:117], v[120:121]
	v_add_f64 v[114:115], v[114:115], v[118:119]
	v_fma_f64 v[118:119], v[112:113], s[8:9], v[122:123]
	v_fma_f64 v[122:123], v[112:113], s[6:7], v[122:123]
	;; [unrolled: 1-line block ×4, first 2 shown]
	v_add_f64 v[110:111], v[130:131], v[134:135]
	v_add_f64 v[112:113], v[132:133], v[136:137]
	v_fma_f64 v[110:111], v[110:111], -0.5, v[126:127]
	v_fma_f64 v[112:113], v[112:113], -0.5, v[128:129]
	v_add_f64 v[128:129], v[128:129], v[132:133]
	v_add_f64 v[126:127], v[126:127], v[130:131]
	v_add_f64 v[132:133], v[132:133], -v[136:137]
	v_add_f64 v[128:129], v[128:129], v[136:137]
	v_add_f64 v[126:127], v[126:127], v[134:135]
	v_add_f64 v[136:137], v[130:131], -v[134:135]
	v_fma_f64 v[130:131], v[132:133], s[8:9], v[110:111]
	v_fma_f64 v[134:135], v[132:133], s[6:7], v[110:111]
	v_mov_b32_e32 v110, 30
	v_mul_u32_u24_sdwa v111, v138, v110 dst_sel:DWORD dst_unused:UNUSED_PAD src0_sel:WORD_0 src1_sel:DWORD
	v_add_lshl_u32 v111, v111, v139, 4
	buffer_store_dword v111, off, s[36:39], 0 offset:920 ; 4-byte Folded Spill
	s_waitcnt_vscnt null, 0x0
	s_barrier
	buffer_gl0_inv
	ds_write_b128 v111, v[0:3]
	ds_write_b128 v111, v[4:7] offset:160
	ds_write_b128 v111, v[13:16] offset:320
	v_mul_u32_u24_sdwa v0, v141, v110 dst_sel:DWORD dst_unused:UNUSED_PAD src0_sel:WORD_0 src1_sel:DWORD
	v_fma_f64 v[132:133], v[136:137], s[6:7], v[112:113]
	v_fma_f64 v[136:137], v[136:137], s[8:9], v[112:113]
	v_add_lshl_u32 v0, v0, v142, 4
	buffer_store_dword v0, off, s[36:39], 0 offset:916 ; 4-byte Folded Spill
	ds_write_b128 v0, v[17:20]
	ds_write_b128 v0, v[21:24] offset:160
	ds_write_b128 v0, v[25:28] offset:320
	v_mul_u32_u24_sdwa v0, v9, v110 dst_sel:DWORD dst_unused:UNUSED_PAD src0_sel:WORD_0 src1_sel:DWORD
	v_add_lshl_u32 v0, v0, v143, 4
	buffer_store_dword v0, off, s[36:39], 0 offset:912 ; 4-byte Folded Spill
	ds_write_b128 v0, v[29:32]
	ds_write_b128 v0, v[33:36] offset:160
	ds_write_b128 v0, v[37:40] offset:320
	v_mad_u16 v0, v144, 30, v145
	v_lshlrev_b32_sdwa v0, v101, v0 dst_sel:DWORD dst_unused:UNUSED_PAD src0_sel:DWORD src1_sel:WORD_0
	buffer_store_dword v0, off, s[36:39], 0 offset:908 ; 4-byte Folded Spill
	ds_write_b128 v0, v[41:44]
	ds_write_b128 v0, v[45:48] offset:160
	ds_write_b128 v0, v[49:52] offset:320
	v_mad_u16 v0, v146, 30, v147
	v_lshlrev_b32_sdwa v0, v101, v0 dst_sel:DWORD dst_unused:UNUSED_PAD src0_sel:DWORD src1_sel:WORD_0
	;; [unrolled: 6-line block ×7, first 2 shown]
	buffer_store_dword v0, off, s[36:39], 0 offset:884 ; 4-byte Folded Spill
	ds_write_b128 v0, v[126:129]
	ds_write_b128 v0, v[130:133] offset:160
	ds_write_b128 v0, v[134:137] offset:320
	v_mul_lo_u16 v0, 0x89, v11
	s_waitcnt lgkmcnt(0)
	s_waitcnt_vscnt null, 0x0
	s_barrier
	buffer_gl0_inv
	v_lshrrev_b16 v9, 12, v0
	v_mul_lo_u16 v0, v9, 30
	v_sub_nc_u16 v0, v196, v0
	v_and_b32_e32 v11, 0xff, v0
	v_lshlrev_b32_e32 v13, 5, v11
	global_load_dwordx4 v[14:17], v13, s[10:11] offset:320
	s_waitcnt vmcnt(0)
	buffer_store_dword v14, off, s[36:39], 0 offset:852 ; 4-byte Folded Spill
	buffer_store_dword v15, off, s[36:39], 0 offset:856 ; 4-byte Folded Spill
	;; [unrolled: 1-line block ×4, first 2 shown]
	ds_read_b128 v[0:3], v86 offset:12960
	s_waitcnt lgkmcnt(0)
	v_mul_f64 v[4:5], v[2:3], v[16:17]
	v_fma_f64 v[4:5], v[0:1], v[14:15], -v[4:5]
	v_mul_f64 v[0:1], v[0:1], v[16:17]
	v_fma_f64 v[6:7], v[2:3], v[14:15], v[0:1]
	global_load_dwordx4 v[15:18], v13, s[10:11] offset:336
	s_waitcnt vmcnt(0)
	buffer_store_dword v15, off, s[36:39], 0 offset:868 ; 4-byte Folded Spill
	buffer_store_dword v16, off, s[36:39], 0 offset:872 ; 4-byte Folded Spill
	;; [unrolled: 1-line block ×4, first 2 shown]
	ds_read_b128 v[0:3], v86 offset:25920
	s_waitcnt lgkmcnt(0)
	v_mul_f64 v[13:14], v[2:3], v[17:18]
	v_fma_f64 v[13:14], v[0:1], v[15:16], -v[13:14]
	v_mul_f64 v[0:1], v[0:1], v[17:18]
	v_fma_f64 v[15:16], v[2:3], v[15:16], v[0:1]
	v_mul_lo_u16 v0, 0x89, v140
	v_lshrrev_b16 v138, 12, v0
	v_mul_lo_u16 v0, v138, 30
	v_sub_nc_u16 v0, v12, v0
	v_and_b32_e32 v139, 0xff, v0
	v_lshlrev_b32_e32 v19, 5, v139
	global_load_dwordx4 v[23:26], v19, s[10:11] offset:320
	s_waitcnt vmcnt(0)
	buffer_store_dword v23, off, s[36:39], 0 offset:836 ; 4-byte Folded Spill
	buffer_store_dword v24, off, s[36:39], 0 offset:840 ; 4-byte Folded Spill
	;; [unrolled: 1-line block ×4, first 2 shown]
	global_load_dwordx4 v[27:30], v19, s[10:11] offset:336
	ds_read_b128 v[0:3], v86 offset:14256
	s_waitcnt vmcnt(0)
	buffer_store_dword v27, off, s[36:39], 0 offset:772 ; 4-byte Folded Spill
	buffer_store_dword v28, off, s[36:39], 0 offset:776 ; 4-byte Folded Spill
	;; [unrolled: 1-line block ×4, first 2 shown]
	s_waitcnt lgkmcnt(0)
	v_mul_f64 v[17:18], v[2:3], v[25:26]
	v_fma_f64 v[21:22], v[0:1], v[23:24], -v[17:18]
	v_mul_f64 v[0:1], v[0:1], v[25:26]
	v_fma_f64 v[23:24], v[2:3], v[23:24], v[0:1]
	ds_read_b128 v[0:3], v86 offset:27216
	s_waitcnt lgkmcnt(0)
	v_mul_f64 v[17:18], v[2:3], v[29:30]
	v_fma_f64 v[25:26], v[0:1], v[27:28], -v[17:18]
	v_mul_f64 v[0:1], v[0:1], v[29:30]
	v_fma_f64 v[27:28], v[2:3], v[27:28], v[0:1]
	v_mul_lo_u16 v0, 0x89, v8
	v_mul_lo_u16 v8, 0xb7, v8
	v_lshrrev_b16 v140, 12, v0
	v_lshrrev_b16 v8, 14, v8
	v_mul_lo_u16 v0, v140, 30
	v_sub_nc_u16 v0, v10, v0
	v_and_b32_e32 v141, 0xff, v0
	v_lshlrev_b32_e32 v19, 5, v141
	global_load_dwordx4 v[29:32], v19, s[10:11] offset:320
	s_waitcnt vmcnt(0)
	buffer_store_dword v29, off, s[36:39], 0 offset:804 ; 4-byte Folded Spill
	buffer_store_dword v30, off, s[36:39], 0 offset:808 ; 4-byte Folded Spill
	;; [unrolled: 1-line block ×4, first 2 shown]
	ds_read_b128 v[0:3], v86 offset:15552
	s_waitcnt lgkmcnt(0)
	v_mul_f64 v[17:18], v[2:3], v[31:32]
	v_fma_f64 v[33:34], v[0:1], v[29:30], -v[17:18]
	v_mul_f64 v[0:1], v[0:1], v[31:32]
	v_fma_f64 v[35:36], v[2:3], v[29:30], v[0:1]
	global_load_dwordx4 v[29:32], v19, s[10:11] offset:336
	s_waitcnt vmcnt(0)
	buffer_store_dword v29, off, s[36:39], 0 offset:820 ; 4-byte Folded Spill
	buffer_store_dword v30, off, s[36:39], 0 offset:824 ; 4-byte Folded Spill
	;; [unrolled: 1-line block ×4, first 2 shown]
	ds_read_b128 v[0:3], v86 offset:28512
	s_waitcnt lgkmcnt(0)
	v_mul_f64 v[17:18], v[2:3], v[31:32]
	v_fma_f64 v[37:38], v[0:1], v[29:30], -v[17:18]
	v_mul_f64 v[0:1], v[0:1], v[31:32]
	v_fma_f64 v[39:40], v[2:3], v[29:30], v[0:1]
	v_mov_b32_e32 v29, 0x8889
	v_mul_u32_u24_sdwa v0, v100, v29 dst_sel:DWORD dst_unused:UNUSED_PAD src0_sel:WORD_0 src1_sel:DWORD
	v_lshrrev_b32_e32 v142, 20, v0
	v_mul_lo_u16 v0, v142, 30
	v_sub_nc_u16 v143, v100, v0
	v_lshlrev_b16 v0, 5, v143
	v_and_b32_e32 v0, 0xffff, v0
	v_add_co_u32 v17, s30, s10, v0
	v_add_co_ci_u32_e64 v18, null, s11, 0, s30
	global_load_dwordx4 v[41:44], v[17:18], off offset:320
	s_waitcnt vmcnt(0)
	buffer_store_dword v41, off, s[36:39], 0 offset:788 ; 4-byte Folded Spill
	buffer_store_dword v42, off, s[36:39], 0 offset:792 ; 4-byte Folded Spill
	buffer_store_dword v43, off, s[36:39], 0 offset:796 ; 4-byte Folded Spill
	buffer_store_dword v44, off, s[36:39], 0 offset:800 ; 4-byte Folded Spill
	ds_read_b128 v[0:3], v86 offset:16848
	s_waitcnt lgkmcnt(0)
	v_mul_f64 v[19:20], v[2:3], v[43:44]
	v_fma_f64 v[45:46], v[0:1], v[41:42], -v[19:20]
	v_mul_f64 v[0:1], v[0:1], v[43:44]
	v_fma_f64 v[47:48], v[2:3], v[41:42], v[0:1]
	global_load_dwordx4 v[41:44], v[17:18], off offset:336
	s_waitcnt vmcnt(0)
	buffer_store_dword v41, off, s[36:39], 0 offset:692 ; 4-byte Folded Spill
	buffer_store_dword v42, off, s[36:39], 0 offset:696 ; 4-byte Folded Spill
	buffer_store_dword v43, off, s[36:39], 0 offset:700 ; 4-byte Folded Spill
	buffer_store_dword v44, off, s[36:39], 0 offset:704 ; 4-byte Folded Spill
	ds_read_b128 v[0:3], v86 offset:29808
	s_waitcnt lgkmcnt(0)
	v_mul_f64 v[17:18], v[2:3], v[43:44]
	v_fma_f64 v[49:50], v[0:1], v[41:42], -v[17:18]
	v_mul_f64 v[0:1], v[0:1], v[43:44]
	v_add_f64 v[53:54], v[45:46], v[49:50]
	v_fma_f64 v[51:52], v[2:3], v[41:42], v[0:1]
	v_mul_u32_u24_sdwa v0, v99, v29 dst_sel:DWORD dst_unused:UNUSED_PAD src0_sel:WORD_0 src1_sel:DWORD
	v_lshrrev_b32_e32 v144, 20, v0
	v_mul_lo_u16 v0, v144, 30
	v_sub_nc_u16 v145, v99, v0
	v_lshlrev_b16 v0, 5, v145
	v_add_f64 v[55:56], v[47:48], v[51:52]
	v_and_b32_e32 v0, 0xffff, v0
	v_add_co_u32 v17, s30, s10, v0
	v_add_co_ci_u32_e64 v18, null, s11, 0, s30
	global_load_dwordx4 v[41:44], v[17:18], off offset:320
	s_waitcnt vmcnt(0)
	buffer_store_dword v41, off, s[36:39], 0 offset:740 ; 4-byte Folded Spill
	buffer_store_dword v42, off, s[36:39], 0 offset:744 ; 4-byte Folded Spill
	buffer_store_dword v43, off, s[36:39], 0 offset:748 ; 4-byte Folded Spill
	buffer_store_dword v44, off, s[36:39], 0 offset:752 ; 4-byte Folded Spill
	ds_read_b128 v[0:3], v86 offset:18144
	s_waitcnt lgkmcnt(0)
	v_mul_f64 v[19:20], v[2:3], v[43:44]
	v_fma_f64 v[57:58], v[0:1], v[41:42], -v[19:20]
	v_mul_f64 v[0:1], v[0:1], v[43:44]
	v_fma_f64 v[59:60], v[2:3], v[41:42], v[0:1]
	global_load_dwordx4 v[41:44], v[17:18], off offset:336
	s_waitcnt vmcnt(0)
	buffer_store_dword v41, off, s[36:39], 0 offset:756 ; 4-byte Folded Spill
	buffer_store_dword v42, off, s[36:39], 0 offset:760 ; 4-byte Folded Spill
	buffer_store_dword v43, off, s[36:39], 0 offset:764 ; 4-byte Folded Spill
	buffer_store_dword v44, off, s[36:39], 0 offset:768 ; 4-byte Folded Spill
	ds_read_b128 v[0:3], v86 offset:31104
	s_waitcnt lgkmcnt(0)
	v_mul_f64 v[17:18], v[2:3], v[43:44]
	v_fma_f64 v[61:62], v[0:1], v[41:42], -v[17:18]
	v_mul_f64 v[0:1], v[0:1], v[43:44]
	v_add_f64 v[65:66], v[57:58], v[61:62]
	v_fma_f64 v[63:64], v[2:3], v[41:42], v[0:1]
	v_mul_u32_u24_sdwa v0, v98, v29 dst_sel:DWORD dst_unused:UNUSED_PAD src0_sel:WORD_0 src1_sel:DWORD
	v_lshrrev_b32_e32 v146, 20, v0
	v_mul_lo_u16 v0, v146, 30
	v_sub_nc_u16 v147, v98, v0
	v_lshlrev_b16 v0, 5, v147
	v_add_f64 v[67:68], v[59:60], v[63:64]
	v_and_b32_e32 v0, 0xffff, v0
	v_add_co_u32 v17, s30, s10, v0
	v_add_co_ci_u32_e64 v18, null, s11, 0, s30
	global_load_dwordx4 v[41:44], v[17:18], off offset:320
	s_waitcnt vmcnt(0)
	buffer_store_dword v41, off, s[36:39], 0 offset:724 ; 4-byte Folded Spill
	buffer_store_dword v42, off, s[36:39], 0 offset:728 ; 4-byte Folded Spill
	buffer_store_dword v43, off, s[36:39], 0 offset:732 ; 4-byte Folded Spill
	buffer_store_dword v44, off, s[36:39], 0 offset:736 ; 4-byte Folded Spill
	ds_read_b128 v[0:3], v86 offset:19440
	s_waitcnt lgkmcnt(0)
	v_mul_f64 v[19:20], v[2:3], v[43:44]
	v_fma_f64 v[69:70], v[0:1], v[41:42], -v[19:20]
	v_mul_f64 v[0:1], v[0:1], v[43:44]
	v_fma_f64 v[71:72], v[2:3], v[41:42], v[0:1]
	global_load_dwordx4 v[41:44], v[17:18], off offset:336
	s_waitcnt vmcnt(0)
	buffer_store_dword v41, off, s[36:39], 0 offset:628 ; 4-byte Folded Spill
	buffer_store_dword v42, off, s[36:39], 0 offset:632 ; 4-byte Folded Spill
	buffer_store_dword v43, off, s[36:39], 0 offset:636 ; 4-byte Folded Spill
	buffer_store_dword v44, off, s[36:39], 0 offset:640 ; 4-byte Folded Spill
	ds_read_b128 v[0:3], v86 offset:32400
	s_waitcnt lgkmcnt(0)
	v_mul_f64 v[17:18], v[2:3], v[43:44]
	v_fma_f64 v[73:74], v[0:1], v[41:42], -v[17:18]
	v_mul_f64 v[0:1], v[0:1], v[43:44]
	v_add_f64 v[77:78], v[69:70], v[73:74]
	v_fma_f64 v[75:76], v[2:3], v[41:42], v[0:1]
	v_mul_u32_u24_sdwa v0, v97, v29 dst_sel:DWORD dst_unused:UNUSED_PAD src0_sel:WORD_0 src1_sel:DWORD
	v_lshrrev_b32_e32 v148, 20, v0
	v_mul_lo_u16 v0, v148, 30
	v_sub_nc_u16 v149, v97, v0
	v_lshlrev_b16 v0, 5, v149
	v_add_f64 v[79:80], v[71:72], v[75:76]
	v_and_b32_e32 v0, 0xffff, v0
	v_add_co_u32 v17, s30, s10, v0
	v_add_co_ci_u32_e64 v18, null, s11, 0, s30
	global_load_dwordx4 v[41:44], v[17:18], off offset:320
	s_waitcnt vmcnt(0)
	buffer_store_dword v41, off, s[36:39], 0 offset:676 ; 4-byte Folded Spill
	buffer_store_dword v42, off, s[36:39], 0 offset:680 ; 4-byte Folded Spill
	buffer_store_dword v43, off, s[36:39], 0 offset:684 ; 4-byte Folded Spill
	buffer_store_dword v44, off, s[36:39], 0 offset:688 ; 4-byte Folded Spill
	ds_read_b128 v[0:3], v86 offset:20736
	s_waitcnt lgkmcnt(0)
	v_mul_f64 v[19:20], v[2:3], v[43:44]
	v_fma_f64 v[81:82], v[0:1], v[41:42], -v[19:20]
	v_mul_f64 v[0:1], v[0:1], v[43:44]
	v_fma_f64 v[83:84], v[2:3], v[41:42], v[0:1]
	global_load_dwordx4 v[41:44], v[17:18], off offset:336
	s_waitcnt vmcnt(0)
	buffer_store_dword v41, off, s[36:39], 0 offset:708 ; 4-byte Folded Spill
	buffer_store_dword v42, off, s[36:39], 0 offset:712 ; 4-byte Folded Spill
	buffer_store_dword v43, off, s[36:39], 0 offset:716 ; 4-byte Folded Spill
	buffer_store_dword v44, off, s[36:39], 0 offset:720 ; 4-byte Folded Spill
	ds_read_b128 v[0:3], v86 offset:33696
	s_waitcnt lgkmcnt(0)
	v_mul_f64 v[17:18], v[2:3], v[43:44]
	v_fma_f64 v[87:88], v[0:1], v[41:42], -v[17:18]
	v_mul_f64 v[0:1], v[0:1], v[43:44]
	v_add_f64 v[91:92], v[81:82], v[87:88]
	v_fma_f64 v[89:90], v[2:3], v[41:42], v[0:1]
	v_mul_u32_u24_sdwa v0, v96, v29 dst_sel:DWORD dst_unused:UNUSED_PAD src0_sel:WORD_0 src1_sel:DWORD
	v_lshrrev_b32_e32 v150, 20, v0
	v_mul_lo_u16 v0, v150, 30
	v_sub_nc_u16 v151, v96, v0
	v_lshlrev_b16 v0, 5, v151
	v_add_f64 v[93:94], v[83:84], v[89:90]
	v_and_b32_e32 v0, 0xffff, v0
	v_add_co_u32 v17, s30, s10, v0
	v_add_co_ci_u32_e64 v18, null, s11, 0, s30
	global_load_dwordx4 v[41:44], v[17:18], off offset:320
	s_waitcnt vmcnt(0)
	buffer_store_dword v41, off, s[36:39], 0 offset:660 ; 4-byte Folded Spill
	buffer_store_dword v42, off, s[36:39], 0 offset:664 ; 4-byte Folded Spill
	buffer_store_dword v43, off, s[36:39], 0 offset:668 ; 4-byte Folded Spill
	buffer_store_dword v44, off, s[36:39], 0 offset:672 ; 4-byte Folded Spill
	ds_read_b128 v[0:3], v86 offset:22032
	s_waitcnt lgkmcnt(0)
	v_mul_f64 v[19:20], v[2:3], v[43:44]
	v_fma_f64 v[102:103], v[0:1], v[41:42], -v[19:20]
	v_mul_f64 v[0:1], v[0:1], v[43:44]
	v_fma_f64 v[104:105], v[2:3], v[41:42], v[0:1]
	global_load_dwordx4 v[41:44], v[17:18], off offset:336
	s_waitcnt vmcnt(0)
	buffer_store_dword v41, off, s[36:39], 0 offset:580 ; 4-byte Folded Spill
	buffer_store_dword v42, off, s[36:39], 0 offset:584 ; 4-byte Folded Spill
	buffer_store_dword v43, off, s[36:39], 0 offset:588 ; 4-byte Folded Spill
	buffer_store_dword v44, off, s[36:39], 0 offset:592 ; 4-byte Folded Spill
	ds_read_b128 v[0:3], v86 offset:34992
	s_waitcnt lgkmcnt(0)
	v_mul_f64 v[17:18], v[2:3], v[43:44]
	v_fma_f64 v[106:107], v[0:1], v[41:42], -v[17:18]
	v_mul_f64 v[0:1], v[0:1], v[43:44]
	v_add_f64 v[114:115], v[102:103], v[106:107]
	v_fma_f64 v[108:109], v[2:3], v[41:42], v[0:1]
	v_mul_u32_u24_sdwa v0, v95, v29 dst_sel:DWORD dst_unused:UNUSED_PAD src0_sel:WORD_0 src1_sel:DWORD
	v_lshrrev_b32_e32 v152, 20, v0
	v_mul_lo_u16 v0, v152, 30
	v_sub_nc_u16 v153, v95, v0
	v_lshlrev_b16 v0, 5, v153
	v_add_f64 v[116:117], v[104:105], v[108:109]
	v_and_b32_e32 v0, 0xffff, v0
	v_add_co_u32 v17, s30, s10, v0
	v_add_co_ci_u32_e64 v18, null, s11, 0, s30
	global_load_dwordx4 v[41:44], v[17:18], off offset:320
	s_waitcnt vmcnt(0)
	buffer_store_dword v41, off, s[36:39], 0 offset:612 ; 4-byte Folded Spill
	buffer_store_dword v42, off, s[36:39], 0 offset:616 ; 4-byte Folded Spill
	;; [unrolled: 1-line block ×4, first 2 shown]
	ds_read_b128 v[0:3], v86 offset:23328
	s_waitcnt lgkmcnt(0)
	v_mul_f64 v[19:20], v[2:3], v[43:44]
	v_fma_f64 v[110:111], v[0:1], v[41:42], -v[19:20]
	v_mul_f64 v[0:1], v[0:1], v[43:44]
	v_fma_f64 v[112:113], v[2:3], v[41:42], v[0:1]
	global_load_dwordx4 v[41:44], v[17:18], off offset:336
	s_waitcnt vmcnt(0)
	buffer_store_dword v41, off, s[36:39], 0 offset:644 ; 4-byte Folded Spill
	buffer_store_dword v42, off, s[36:39], 0 offset:648 ; 4-byte Folded Spill
	;; [unrolled: 1-line block ×4, first 2 shown]
	ds_read_b128 v[0:3], v86 offset:36288
	s_waitcnt lgkmcnt(0)
	v_mul_f64 v[17:18], v[2:3], v[43:44]
	v_fma_f64 v[118:119], v[0:1], v[41:42], -v[17:18]
	v_mul_f64 v[0:1], v[0:1], v[43:44]
	v_add_f64 v[43:44], v[35:36], v[39:40]
	v_add_f64 v[122:123], v[110:111], v[118:119]
	v_fma_f64 v[120:121], v[2:3], v[41:42], v[0:1]
	v_mul_u32_u24_sdwa v0, v85, v29 dst_sel:DWORD dst_unused:UNUSED_PAD src0_sel:WORD_0 src1_sel:DWORD
	v_add_f64 v[41:42], v[33:34], v[37:38]
	v_lshrrev_b32_e32 v155, 20, v0
	v_mul_lo_u16 v0, v155, 30
	v_sub_nc_u16 v156, v85, v0
	v_lshlrev_b16 v0, 5, v156
	v_add_f64 v[124:125], v[112:113], v[120:121]
	v_and_b32_e32 v0, 0xffff, v0
	v_add_co_u32 v17, s30, s10, v0
	v_add_co_ci_u32_e64 v18, null, s11, 0, s30
	global_load_dwordx4 v[29:32], v[17:18], off offset:320
	s_waitcnt vmcnt(0)
	buffer_store_dword v29, off, s[36:39], 0 offset:596 ; 4-byte Folded Spill
	buffer_store_dword v30, off, s[36:39], 0 offset:600 ; 4-byte Folded Spill
	;; [unrolled: 1-line block ×4, first 2 shown]
	ds_read_b128 v[0:3], v86 offset:24624
	s_waitcnt lgkmcnt(0)
	v_mul_f64 v[19:20], v[2:3], v[31:32]
	v_fma_f64 v[130:131], v[0:1], v[29:30], -v[19:20]
	v_mul_f64 v[0:1], v[0:1], v[31:32]
	v_add_f64 v[19:20], v[6:7], v[15:16]
	v_fma_f64 v[132:133], v[2:3], v[29:30], v[0:1]
	global_load_dwordx4 v[29:32], v[17:18], off offset:336
	s_waitcnt vmcnt(0)
	buffer_store_dword v29, off, s[36:39], 0 offset:564 ; 4-byte Folded Spill
	buffer_store_dword v30, off, s[36:39], 0 offset:568 ; 4-byte Folded Spill
	;; [unrolled: 1-line block ×4, first 2 shown]
	ds_read_b128 v[0:3], v86 offset:37584
	ds_read_b128 v[126:129], v86 offset:11664
	s_waitcnt lgkmcnt(1)
	v_mul_f64 v[17:18], v[2:3], v[31:32]
	v_fma_f64 v[134:135], v[0:1], v[29:30], -v[17:18]
	v_mul_f64 v[0:1], v[0:1], v[31:32]
	v_add_f64 v[17:18], v[4:5], v[13:14]
	v_add_f64 v[31:32], v[23:24], v[27:28]
	v_fma_f64 v[136:137], v[2:3], v[29:30], v[0:1]
	ds_read_b128 v[0:3], v86
	v_add_f64 v[29:30], v[21:22], v[25:26]
	s_waitcnt lgkmcnt(0)
	v_fma_f64 v[19:20], v[19:20], -0.5, v[2:3]
	v_add_f64 v[2:3], v[2:3], v[6:7]
	v_fma_f64 v[17:18], v[17:18], -0.5, v[0:1]
	v_add_f64 v[0:1], v[0:1], v[4:5]
	v_add_f64 v[6:7], v[6:7], -v[15:16]
	v_add_f64 v[2:3], v[2:3], v[15:16]
	v_add_f64 v[15:16], v[4:5], -v[13:14]
	v_add_f64 v[0:1], v[0:1], v[13:14]
	v_fma_f64 v[4:5], v[6:7], s[8:9], v[17:18]
	v_fma_f64 v[13:14], v[6:7], s[6:7], v[17:18]
	v_fma_f64 v[6:7], v[15:16], s[6:7], v[19:20]
	v_fma_f64 v[15:16], v[15:16], s[8:9], v[19:20]
	ds_read_b128 v[17:20], v86 offset:1296
	s_waitcnt lgkmcnt(0)
	v_fma_f64 v[31:32], v[31:32], -0.5, v[19:20]
	v_add_f64 v[19:20], v[19:20], v[23:24]
	v_fma_f64 v[29:30], v[29:30], -0.5, v[17:18]
	v_add_f64 v[17:18], v[17:18], v[21:22]
	v_add_f64 v[23:24], v[23:24], -v[27:28]
	v_add_f64 v[19:20], v[19:20], v[27:28]
	v_add_f64 v[27:28], v[21:22], -v[25:26]
	v_add_f64 v[17:18], v[17:18], v[25:26]
	v_fma_f64 v[21:22], v[23:24], s[8:9], v[29:30]
	v_fma_f64 v[25:26], v[23:24], s[6:7], v[29:30]
	v_fma_f64 v[23:24], v[27:28], s[6:7], v[31:32]
	v_fma_f64 v[27:28], v[27:28], s[8:9], v[31:32]
	ds_read_b128 v[29:32], v86 offset:2592
	;; [unrolled: 14-line block ×8, first 2 shown]
	s_waitcnt lgkmcnt(0)
	v_fma_f64 v[122:123], v[122:123], -0.5, v[114:115]
	v_fma_f64 v[124:125], v[124:125], -0.5, v[116:117]
	v_add_f64 v[116:117], v[116:117], v[112:113]
	v_add_f64 v[114:115], v[114:115], v[110:111]
	v_add_f64 v[112:113], v[112:113], -v[120:121]
	v_add_f64 v[110:111], v[110:111], -v[118:119]
	v_add_f64 v[116:117], v[116:117], v[120:121]
	v_add_f64 v[114:115], v[114:115], v[118:119]
	v_fma_f64 v[118:119], v[112:113], s[8:9], v[122:123]
	v_fma_f64 v[122:123], v[112:113], s[6:7], v[122:123]
	v_fma_f64 v[120:121], v[110:111], s[6:7], v[124:125]
	v_fma_f64 v[124:125], v[110:111], s[8:9], v[124:125]
	v_add_f64 v[110:111], v[130:131], v[134:135]
	v_add_f64 v[112:113], v[132:133], v[136:137]
	v_fma_f64 v[110:111], v[110:111], -0.5, v[126:127]
	v_fma_f64 v[112:113], v[112:113], -0.5, v[128:129]
	v_add_f64 v[128:129], v[128:129], v[132:133]
	v_add_f64 v[126:127], v[126:127], v[130:131]
	v_add_f64 v[132:133], v[132:133], -v[136:137]
	v_add_f64 v[128:129], v[128:129], v[136:137]
	v_add_f64 v[126:127], v[126:127], v[134:135]
	v_add_f64 v[136:137], v[130:131], -v[134:135]
	v_fma_f64 v[130:131], v[132:133], s[8:9], v[110:111]
	v_fma_f64 v[134:135], v[132:133], s[6:7], v[110:111]
	v_mov_b32_e32 v110, 0x5a
	v_mul_u32_u24_sdwa v9, v9, v110 dst_sel:DWORD dst_unused:UNUSED_PAD src0_sel:WORD_0 src1_sel:DWORD
	v_add_lshl_u32 v9, v9, v11, 4
	v_add_co_u32 v11, s30, v197, -9
	buffer_store_dword v9, off, s[36:39], 0 offset:560 ; 4-byte Folded Spill
	s_waitcnt_vscnt null, 0x0
	s_barrier
	buffer_gl0_inv
	ds_write_b128 v9, v[0:3]
	ds_write_b128 v9, v[4:7] offset:480
	ds_write_b128 v9, v[13:16] offset:960
	v_mul_u32_u24_sdwa v0, v138, v110 dst_sel:DWORD dst_unused:UNUSED_PAD src0_sel:WORD_0 src1_sel:DWORD
	v_fma_f64 v[132:133], v[136:137], s[6:7], v[112:113]
	v_fma_f64 v[136:137], v[136:137], s[8:9], v[112:113]
	v_lshlrev_b32_e32 v9, 5, v197
	v_add_lshl_u32 v0, v0, v139, 4
	buffer_store_dword v0, off, s[36:39], 0 offset:556 ; 4-byte Folded Spill
	ds_write_b128 v0, v[17:20]
	ds_write_b128 v0, v[21:24] offset:480
	ds_write_b128 v0, v[25:28] offset:960
	v_mul_u32_u24_sdwa v0, v140, v110 dst_sel:DWORD dst_unused:UNUSED_PAD src0_sel:WORD_0 src1_sel:DWORD
	v_cndmask_b32_e32 v110, v11, v12, vcc_lo
	v_mul_lo_u16 v11, 0x5a, v8
	v_add_lshl_u32 v0, v0, v141, 4
	v_sub_nc_u16 v11, v10, v11
	v_lshlrev_b32_e32 v10, 5, v10
	buffer_store_dword v0, off, s[36:39], 0 offset:552 ; 4-byte Folded Spill
	ds_write_b128 v0, v[29:32]
	ds_write_b128 v0, v[33:36] offset:480
	ds_write_b128 v0, v[37:40] offset:960
	v_mad_u16 v0, 0x5a, v142, v143
	v_and_b32_e32 v11, 0xff, v11
	v_lshlrev_b32_sdwa v0, v101, v0 dst_sel:DWORD dst_unused:UNUSED_PAD src0_sel:DWORD src1_sel:WORD_0
	buffer_store_dword v0, off, s[36:39], 0 offset:548 ; 4-byte Folded Spill
	ds_write_b128 v0, v[41:44]
	ds_write_b128 v0, v[45:48] offset:480
	ds_write_b128 v0, v[49:52] offset:960
	v_mad_u16 v0, 0x5a, v144, v145
	v_lshlrev_b32_sdwa v0, v101, v0 dst_sel:DWORD dst_unused:UNUSED_PAD src0_sel:DWORD src1_sel:WORD_0
	buffer_store_dword v0, off, s[36:39], 0 offset:544 ; 4-byte Folded Spill
	ds_write_b128 v0, v[53:56]
	ds_write_b128 v0, v[57:60] offset:480
	ds_write_b128 v0, v[61:64] offset:960
	v_mad_u16 v0, 0x5a, v146, v147
	;; [unrolled: 6-line block ×6, first 2 shown]
	v_lshlrev_b32_sdwa v0, v101, v0 dst_sel:DWORD dst_unused:UNUSED_PAD src0_sel:DWORD src1_sel:WORD_0
	buffer_store_dword v0, off, s[36:39], 0 offset:524 ; 4-byte Folded Spill
	ds_write_b128 v0, v[126:129]
	ds_write_b128 v0, v[130:133] offset:480
	ds_write_b128 v0, v[134:137] offset:960
	s_waitcnt lgkmcnt(0)
	s_waitcnt_vscnt null, 0x0
	s_barrier
	buffer_gl0_inv
	global_load_dwordx4 v[13:16], v9, s[10:11] offset:1280
	s_waitcnt vmcnt(0)
	buffer_store_dword v13, off, s[36:39], 0 offset:492 ; 4-byte Folded Spill
	buffer_store_dword v14, off, s[36:39], 0 offset:496 ; 4-byte Folded Spill
	;; [unrolled: 1-line block ×4, first 2 shown]
	global_load_dwordx4 v[17:20], v9, s[10:11] offset:1296
	ds_read_b128 v[2:5], v86 offset:12960
	s_waitcnt vmcnt(0)
	buffer_store_dword v17, off, s[36:39], 0 offset:508 ; 4-byte Folded Spill
	buffer_store_dword v18, off, s[36:39], 0 offset:512 ; 4-byte Folded Spill
	;; [unrolled: 1-line block ×4, first 2 shown]
	s_waitcnt lgkmcnt(0)
	v_mul_f64 v[0:1], v[4:5], v[15:16]
	buffer_store_dword v197, off, s[36:39], 0 offset:488 ; 4-byte Folded Spill
	v_fma_f64 v[0:1], v[2:3], v[13:14], -v[0:1]
	v_mul_f64 v[2:3], v[2:3], v[15:16]
	v_fma_f64 v[2:3], v[4:5], v[13:14], v[2:3]
	ds_read_b128 v[13:16], v86 offset:25920
	s_waitcnt lgkmcnt(0)
	v_mul_f64 v[4:5], v[15:16], v[19:20]
	v_mul_f64 v[6:7], v[13:14], v[19:20]
	v_fma_f64 v[4:5], v[13:14], v[17:18], -v[4:5]
	v_add_co_ci_u32_e64 v13, null, 0, 0, s29
	v_add_co_ci_u32_e64 v14, null, 0, -1, s30
	v_fma_f64 v[6:7], v[15:16], v[17:18], v[6:7]
	v_cndmask_b32_e32 v111, v14, v13, vcc_lo
	v_lshlrev_b64 v[13:14], 5, v[110:111]
	v_add_co_u32 v17, vcc_lo, s10, v13
	v_add_co_ci_u32_e32 v18, vcc_lo, s11, v14, vcc_lo
	v_cmp_lt_u16_e32 vcc_lo, 8, v196
	global_load_dwordx4 v[23:26], v[17:18], off offset:1280
	s_waitcnt vmcnt(0)
	buffer_store_dword v23, off, s[36:39], 0 offset:1660 ; 4-byte Folded Spill
	buffer_store_dword v24, off, s[36:39], 0 offset:1664 ; 4-byte Folded Spill
	;; [unrolled: 1-line block ×4, first 2 shown]
	global_load_dwordx4 v[27:30], v[17:18], off offset:1296
	ds_read_b128 v[13:16], v86 offset:14256
	s_waitcnt vmcnt(0)
	buffer_store_dword v27, off, s[36:39], 0 offset:1596 ; 4-byte Folded Spill
	buffer_store_dword v28, off, s[36:39], 0 offset:1600 ; 4-byte Folded Spill
	;; [unrolled: 1-line block ×4, first 2 shown]
	s_waitcnt lgkmcnt(0)
	v_mul_f64 v[19:20], v[15:16], v[25:26]
	v_fma_f64 v[21:22], v[13:14], v[23:24], -v[19:20]
	v_mul_f64 v[13:14], v[13:14], v[25:26]
	v_lshlrev_b32_e32 v19, 5, v11
	v_fma_f64 v[23:24], v[15:16], v[23:24], v[13:14]
	ds_read_b128 v[13:16], v86 offset:27216
	s_waitcnt lgkmcnt(0)
	v_mul_f64 v[17:18], v[15:16], v[29:30]
	v_fma_f64 v[25:26], v[13:14], v[27:28], -v[17:18]
	v_mul_f64 v[13:14], v[13:14], v[29:30]
	global_load_dwordx4 v[29:32], v19, s[10:11] offset:1280
	s_waitcnt vmcnt(0)
	buffer_store_dword v29, off, s[36:39], 0 offset:1628 ; 4-byte Folded Spill
	buffer_store_dword v30, off, s[36:39], 0 offset:1632 ; 4-byte Folded Spill
	;; [unrolled: 1-line block ×4, first 2 shown]
	v_fma_f64 v[27:28], v[15:16], v[27:28], v[13:14]
	ds_read_b128 v[13:16], v86 offset:15552
	s_waitcnt lgkmcnt(0)
	v_mul_f64 v[17:18], v[15:16], v[31:32]
	v_fma_f64 v[33:34], v[13:14], v[29:30], -v[17:18]
	v_mul_f64 v[13:14], v[13:14], v[31:32]
	v_fma_f64 v[35:36], v[15:16], v[29:30], v[13:14]
	global_load_dwordx4 v[29:32], v19, s[10:11] offset:1296
	s_waitcnt vmcnt(0)
	buffer_store_dword v29, off, s[36:39], 0 offset:1644 ; 4-byte Folded Spill
	buffer_store_dword v30, off, s[36:39], 0 offset:1648 ; 4-byte Folded Spill
	;; [unrolled: 1-line block ×4, first 2 shown]
	ds_read_b128 v[13:16], v86 offset:28512
	s_waitcnt lgkmcnt(0)
	v_mul_f64 v[17:18], v[15:16], v[31:32]
	v_fma_f64 v[37:38], v[13:14], v[29:30], -v[17:18]
	v_mul_f64 v[13:14], v[13:14], v[31:32]
	v_fma_f64 v[39:40], v[15:16], v[29:30], v[13:14]
	v_mov_b32_e32 v29, 0x2d83
	v_mul_u32_u24_sdwa v13, v100, v29 dst_sel:DWORD dst_unused:UNUSED_PAD src0_sel:WORD_0 src1_sel:DWORD
	v_lshrrev_b32_e32 v140, 20, v13
	v_mul_lo_u16 v13, 0x5a, v140
	v_sub_nc_u16 v141, v100, v13
	v_lshlrev_b16 v13, 5, v141
	v_and_b32_e32 v13, 0xffff, v13
	v_add_co_u32 v17, s29, s10, v13
	v_add_co_ci_u32_e64 v18, null, s11, 0, s29
	global_load_dwordx4 v[41:44], v[17:18], off offset:1280
	s_waitcnt vmcnt(0)
	buffer_store_dword v41, off, s[36:39], 0 offset:1612 ; 4-byte Folded Spill
	buffer_store_dword v42, off, s[36:39], 0 offset:1616 ; 4-byte Folded Spill
	buffer_store_dword v43, off, s[36:39], 0 offset:1620 ; 4-byte Folded Spill
	buffer_store_dword v44, off, s[36:39], 0 offset:1624 ; 4-byte Folded Spill
	ds_read_b128 v[13:16], v86 offset:16848
	s_waitcnt lgkmcnt(0)
	v_mul_f64 v[19:20], v[15:16], v[43:44]
	v_fma_f64 v[45:46], v[13:14], v[41:42], -v[19:20]
	v_mul_f64 v[13:14], v[13:14], v[43:44]
	v_fma_f64 v[47:48], v[15:16], v[41:42], v[13:14]
	global_load_dwordx4 v[41:44], v[17:18], off offset:1296
	s_waitcnt vmcnt(0)
	buffer_store_dword v41, off, s[36:39], 0 offset:1516 ; 4-byte Folded Spill
	buffer_store_dword v42, off, s[36:39], 0 offset:1520 ; 4-byte Folded Spill
	buffer_store_dword v43, off, s[36:39], 0 offset:1524 ; 4-byte Folded Spill
	buffer_store_dword v44, off, s[36:39], 0 offset:1528 ; 4-byte Folded Spill
	ds_read_b128 v[13:16], v86 offset:29808
	s_waitcnt lgkmcnt(0)
	v_mul_f64 v[17:18], v[15:16], v[43:44]
	v_fma_f64 v[49:50], v[13:14], v[41:42], -v[17:18]
	v_mul_f64 v[13:14], v[13:14], v[43:44]
	v_add_f64 v[53:54], v[45:46], v[49:50]
	v_fma_f64 v[51:52], v[15:16], v[41:42], v[13:14]
	v_mul_u32_u24_sdwa v13, v99, v29 dst_sel:DWORD dst_unused:UNUSED_PAD src0_sel:WORD_0 src1_sel:DWORD
	v_lshrrev_b32_e32 v142, 20, v13
	v_mul_lo_u16 v13, 0x5a, v142
	v_sub_nc_u16 v143, v99, v13
	v_lshlrev_b16 v13, 5, v143
	v_add_f64 v[55:56], v[47:48], v[51:52]
	v_and_b32_e32 v13, 0xffff, v13
	v_add_co_u32 v17, s29, s10, v13
	v_add_co_ci_u32_e64 v18, null, s11, 0, s29
	global_load_dwordx4 v[41:44], v[17:18], off offset:1280
	s_waitcnt vmcnt(0)
	buffer_store_dword v41, off, s[36:39], 0 offset:1564 ; 4-byte Folded Spill
	buffer_store_dword v42, off, s[36:39], 0 offset:1568 ; 4-byte Folded Spill
	buffer_store_dword v43, off, s[36:39], 0 offset:1572 ; 4-byte Folded Spill
	buffer_store_dword v44, off, s[36:39], 0 offset:1576 ; 4-byte Folded Spill
	ds_read_b128 v[13:16], v86 offset:18144
	s_waitcnt lgkmcnt(0)
	v_mul_f64 v[19:20], v[15:16], v[43:44]
	v_fma_f64 v[57:58], v[13:14], v[41:42], -v[19:20]
	v_mul_f64 v[13:14], v[13:14], v[43:44]
	v_fma_f64 v[59:60], v[15:16], v[41:42], v[13:14]
	global_load_dwordx4 v[41:44], v[17:18], off offset:1296
	s_waitcnt vmcnt(0)
	buffer_store_dword v41, off, s[36:39], 0 offset:1580 ; 4-byte Folded Spill
	buffer_store_dword v42, off, s[36:39], 0 offset:1584 ; 4-byte Folded Spill
	buffer_store_dword v43, off, s[36:39], 0 offset:1588 ; 4-byte Folded Spill
	buffer_store_dword v44, off, s[36:39], 0 offset:1592 ; 4-byte Folded Spill
	ds_read_b128 v[13:16], v86 offset:31104
	s_waitcnt lgkmcnt(0)
	v_mul_f64 v[17:18], v[15:16], v[43:44]
	v_fma_f64 v[61:62], v[13:14], v[41:42], -v[17:18]
	v_mul_f64 v[13:14], v[13:14], v[43:44]
	v_add_f64 v[65:66], v[57:58], v[61:62]
	v_fma_f64 v[63:64], v[15:16], v[41:42], v[13:14]
	v_mul_u32_u24_sdwa v13, v98, v29 dst_sel:DWORD dst_unused:UNUSED_PAD src0_sel:WORD_0 src1_sel:DWORD
	v_lshrrev_b32_e32 v144, 20, v13
	v_mul_lo_u16 v13, 0x5a, v144
	v_sub_nc_u16 v145, v98, v13
	v_lshlrev_b16 v13, 5, v145
	v_add_f64 v[67:68], v[59:60], v[63:64]
	;; [unrolled: 34-line block ×5, first 2 shown]
	v_and_b32_e32 v13, 0xffff, v13
	v_add_co_u32 v17, s29, s10, v13
	v_add_co_ci_u32_e64 v18, null, s11, 0, s29
	global_load_dwordx4 v[41:44], v[17:18], off offset:1280
	s_waitcnt vmcnt(0)
	buffer_store_dword v41, off, s[36:39], 0 offset:1436 ; 4-byte Folded Spill
	buffer_store_dword v42, off, s[36:39], 0 offset:1440 ; 4-byte Folded Spill
	;; [unrolled: 1-line block ×4, first 2 shown]
	ds_read_b128 v[13:16], v86 offset:23328
	s_waitcnt lgkmcnt(0)
	v_mul_f64 v[19:20], v[15:16], v[43:44]
	v_fma_f64 v[111:112], v[13:14], v[41:42], -v[19:20]
	v_mul_f64 v[13:14], v[13:14], v[43:44]
	v_fma_f64 v[118:119], v[15:16], v[41:42], v[13:14]
	global_load_dwordx4 v[41:44], v[17:18], off offset:1296
	s_waitcnt vmcnt(0)
	buffer_store_dword v41, off, s[36:39], 0 offset:1468 ; 4-byte Folded Spill
	buffer_store_dword v42, off, s[36:39], 0 offset:1472 ; 4-byte Folded Spill
	;; [unrolled: 1-line block ×4, first 2 shown]
	ds_read_b128 v[13:16], v86 offset:36288
	s_waitcnt lgkmcnt(0)
	v_mul_f64 v[17:18], v[15:16], v[43:44]
	v_fma_f64 v[120:121], v[13:14], v[41:42], -v[17:18]
	v_mul_f64 v[13:14], v[13:14], v[43:44]
	v_add_f64 v[43:44], v[35:36], v[39:40]
	v_add_f64 v[124:125], v[111:112], v[120:121]
	v_fma_f64 v[122:123], v[15:16], v[41:42], v[13:14]
	v_mul_u32_u24_sdwa v13, v85, v29 dst_sel:DWORD dst_unused:UNUSED_PAD src0_sel:WORD_0 src1_sel:DWORD
	v_add_f64 v[41:42], v[33:34], v[37:38]
	v_lshrrev_b32_e32 v13, 20, v13
	v_mul_lo_u16 v13, 0x5a, v13
	v_sub_nc_u16 v152, v85, v13
	v_lshlrev_b16 v13, 5, v152
	v_add_f64 v[126:127], v[118:119], v[122:123]
	v_add_f64 v[128:129], v[118:119], -v[122:123]
	v_and_b32_e32 v13, 0xffff, v13
	v_add_co_u32 v17, s29, s10, v13
	v_add_co_ci_u32_e64 v18, null, s11, 0, s29
	global_load_dwordx4 v[29:32], v[17:18], off offset:1280
	s_waitcnt vmcnt(0)
	buffer_store_dword v29, off, s[36:39], 0 offset:1420 ; 4-byte Folded Spill
	buffer_store_dword v30, off, s[36:39], 0 offset:1424 ; 4-byte Folded Spill
	;; [unrolled: 1-line block ×4, first 2 shown]
	ds_read_b128 v[13:16], v86 offset:24624
	s_waitcnt lgkmcnt(0)
	v_mul_f64 v[19:20], v[15:16], v[31:32]
	v_fma_f64 v[130:131], v[13:14], v[29:30], -v[19:20]
	v_mul_f64 v[13:14], v[13:14], v[31:32]
	v_add_f64 v[19:20], v[2:3], v[6:7]
	v_fma_f64 v[132:133], v[15:16], v[29:30], v[13:14]
	global_load_dwordx4 v[29:32], v[17:18], off offset:1296
	s_waitcnt vmcnt(0)
	buffer_store_dword v29, off, s[36:39], 0 offset:1388 ; 4-byte Folded Spill
	buffer_store_dword v30, off, s[36:39], 0 offset:1392 ; 4-byte Folded Spill
	;; [unrolled: 1-line block ×4, first 2 shown]
	ds_read_b128 v[13:16], v86 offset:37584
	s_waitcnt lgkmcnt(0)
	v_mul_f64 v[17:18], v[15:16], v[31:32]
	v_fma_f64 v[134:135], v[13:14], v[29:30], -v[17:18]
	v_mul_f64 v[13:14], v[13:14], v[31:32]
	v_add_f64 v[17:18], v[0:1], v[4:5]
	v_add_f64 v[31:32], v[23:24], v[27:28]
	v_fma_f64 v[136:137], v[15:16], v[29:30], v[13:14]
	ds_read_b128 v[13:16], v86
	v_add_f64 v[29:30], v[21:22], v[25:26]
	s_waitcnt lgkmcnt(0)
	v_fma_f64 v[19:20], v[19:20], -0.5, v[15:16]
	v_add_f64 v[15:16], v[15:16], v[2:3]
	v_fma_f64 v[17:18], v[17:18], -0.5, v[13:14]
	v_add_f64 v[13:14], v[13:14], v[0:1]
	v_add_f64 v[2:3], v[2:3], -v[6:7]
	v_add_f64 v[138:139], v[132:133], v[136:137]
	v_add_f64 v[15:16], v[15:16], v[6:7]
	v_add_f64 v[6:7], v[0:1], -v[4:5]
	v_add_f64 v[13:14], v[13:14], v[4:5]
	v_fma_f64 v[0:1], v[2:3], s[8:9], v[17:18]
	v_fma_f64 v[4:5], v[2:3], s[6:7], v[17:18]
	v_fma_f64 v[2:3], v[6:7], s[6:7], v[19:20]
	v_fma_f64 v[6:7], v[6:7], s[8:9], v[19:20]
	ds_read_b128 v[17:20], v86 offset:1296
	s_waitcnt lgkmcnt(0)
	v_fma_f64 v[31:32], v[31:32], -0.5, v[19:20]
	v_add_f64 v[19:20], v[19:20], v[23:24]
	v_fma_f64 v[29:30], v[29:30], -0.5, v[17:18]
	v_add_f64 v[17:18], v[17:18], v[21:22]
	v_add_f64 v[23:24], v[23:24], -v[27:28]
	v_add_f64 v[19:20], v[19:20], v[27:28]
	v_add_f64 v[27:28], v[21:22], -v[25:26]
	v_add_f64 v[17:18], v[17:18], v[25:26]
	v_fma_f64 v[21:22], v[23:24], s[8:9], v[29:30]
	v_fma_f64 v[25:26], v[23:24], s[6:7], v[29:30]
	v_fma_f64 v[23:24], v[27:28], s[6:7], v[31:32]
	v_fma_f64 v[27:28], v[27:28], s[8:9], v[31:32]
	ds_read_b128 v[29:32], v86 offset:2592
	s_waitcnt lgkmcnt(0)
	v_fma_f64 v[43:44], v[43:44], -0.5, v[31:32]
	v_add_f64 v[31:32], v[31:32], v[35:36]
	v_fma_f64 v[41:42], v[41:42], -0.5, v[29:30]
	v_add_f64 v[29:30], v[29:30], v[33:34]
	v_add_f64 v[35:36], v[35:36], -v[39:40]
	;; [unrolled: 14-line block ×7, first 2 shown]
	v_add_f64 v[93:94], v[93:94], v[108:109]
	v_add_f64 v[108:109], v[102:103], -v[106:107]
	v_add_f64 v[91:92], v[91:92], v[106:107]
	v_fma_f64 v[102:103], v[104:105], s[8:9], v[113:114]
	v_fma_f64 v[106:107], v[104:105], s[6:7], v[113:114]
	;; [unrolled: 1-line block ×4, first 2 shown]
	ds_read_b128 v[114:117], v86 offset:10368
	s_waitcnt lgkmcnt(0)
	v_fma_f64 v[124:125], v[124:125], -0.5, v[114:115]
	v_fma_f64 v[126:127], v[126:127], -0.5, v[116:117]
	v_add_f64 v[116:117], v[116:117], v[118:119]
	v_add_f64 v[113:114], v[114:115], v[111:112]
	v_add_f64 v[111:112], v[111:112], -v[120:121]
	v_fma_f64 v[118:119], v[128:129], s[8:9], v[124:125]
	v_add_f64 v[116:117], v[116:117], v[122:123]
	v_add_f64 v[114:115], v[113:114], v[120:121]
	v_fma_f64 v[122:123], v[128:129], s[6:7], v[124:125]
	v_fma_f64 v[120:121], v[111:112], s[6:7], v[126:127]
	;; [unrolled: 1-line block ×3, first 2 shown]
	ds_read_b128 v[126:129], v86 offset:11664
	s_waitcnt lgkmcnt(0)
	s_waitcnt_vscnt null, 0x0
	s_barrier
	buffer_gl0_inv
	ds_write_b128 v86, v[13:16]
	ds_write_b128 v86, v[0:3] offset:1440
	ds_write_b128 v86, v[4:7] offset:2880
	v_cndmask_b32_e64 v0, 0, 0x10e, vcc_lo
	v_add_f64 v[111:112], v[130:131], v[134:135]
	v_add_lshl_u32 v0, v110, v0, 4
	buffer_store_dword v0, off, s[36:39], 0 offset:1384 ; 4-byte Folded Spill
	ds_write_b128 v0, v[17:20]
	ds_write_b128 v0, v[21:24] offset:1440
	ds_write_b128 v0, v[25:28] offset:2880
	v_mov_b32_e32 v0, 0x10e
	v_fma_f64 v[138:139], v[138:139], -0.5, v[128:129]
	v_add_f64 v[128:129], v[128:129], v[132:133]
	v_mul_u32_u24_sdwa v0, v8, v0 dst_sel:DWORD dst_unused:UNUSED_PAD src0_sel:WORD_0 src1_sel:DWORD
	v_add_f64 v[132:133], v[132:133], -v[136:137]
	v_add_lshl_u32 v0, v0, v11, 4
	v_fma_f64 v[111:112], v[111:112], -0.5, v[126:127]
	v_add_f64 v[126:127], v[126:127], v[130:131]
	v_lshlrev_b32_e32 v11, 5, v12
	buffer_store_dword v0, off, s[36:39], 0 offset:1380 ; 4-byte Folded Spill
	ds_write_b128 v0, v[29:32]
	ds_write_b128 v0, v[33:36] offset:1440
	ds_write_b128 v0, v[37:40] offset:2880
	v_mad_u16 v0, 0x10e, v140, v141
	v_lshlrev_b32_sdwa v0, v101, v0 dst_sel:DWORD dst_unused:UNUSED_PAD src0_sel:DWORD src1_sel:WORD_0
	v_add_f64 v[128:129], v[128:129], v[136:137]
	buffer_store_dword v0, off, s[36:39], 0 offset:1376 ; 4-byte Folded Spill
	ds_write_b128 v0, v[41:44]
	ds_write_b128 v0, v[45:48] offset:1440
	ds_write_b128 v0, v[49:52] offset:2880
	v_mad_u16 v0, 0x10e, v142, v143
	v_add_f64 v[136:137], v[130:131], -v[134:135]
	v_fma_f64 v[130:131], v[132:133], s[8:9], v[111:112]
	v_lshlrev_b32_sdwa v0, v101, v0 dst_sel:DWORD dst_unused:UNUSED_PAD src0_sel:DWORD src1_sel:WORD_0
	v_add_f64 v[126:127], v[126:127], v[134:135]
	v_fma_f64 v[134:135], v[132:133], s[6:7], v[111:112]
	buffer_store_dword v0, off, s[36:39], 0 offset:1368 ; 4-byte Folded Spill
	ds_write_b128 v0, v[53:56]
	ds_write_b128 v0, v[57:60] offset:1440
	ds_write_b128 v0, v[61:64] offset:2880
	v_mad_u16 v0, 0x10e, v144, v145
	v_lshlrev_b32_sdwa v0, v101, v0 dst_sel:DWORD dst_unused:UNUSED_PAD src0_sel:DWORD src1_sel:WORD_0
	buffer_store_dword v0, off, s[36:39], 0 offset:1364 ; 4-byte Folded Spill
	ds_write_b128 v0, v[65:68]
	ds_write_b128 v0, v[69:72] offset:1440
	ds_write_b128 v0, v[73:76] offset:2880
	v_mad_u16 v0, 0x10e, v146, v147
	v_fma_f64 v[132:133], v[136:137], s[6:7], v[138:139]
	v_fma_f64 v[136:137], v[136:137], s[8:9], v[138:139]
	v_lshlrev_b32_sdwa v0, v101, v0 dst_sel:DWORD dst_unused:UNUSED_PAD src0_sel:DWORD src1_sel:WORD_0
	buffer_store_dword v0, off, s[36:39], 0 offset:1360 ; 4-byte Folded Spill
	ds_write_b128 v0, v[77:80]
	ds_write_b128 v0, v[81:84] offset:1440
	ds_write_b128 v0, v[87:90] offset:2880
	v_mad_u16 v0, 0x10e, v148, v149
	v_lshlrev_b32_sdwa v0, v101, v0 dst_sel:DWORD dst_unused:UNUSED_PAD src0_sel:DWORD src1_sel:WORD_0
	buffer_store_dword v0, off, s[36:39], 0 offset:1356 ; 4-byte Folded Spill
	ds_write_b128 v0, v[91:94]
	ds_write_b128 v0, v[102:105] offset:1440
	ds_write_b128 v0, v[106:109] offset:2880
	v_mad_u16 v0, 0x10e, v150, v151
	v_add_co_u32 v106, s29, s10, v9
	v_add_co_ci_u32_e64 v107, null, s11, 0, s29
	v_lshlrev_b32_sdwa v0, v101, v0 dst_sel:DWORD dst_unused:UNUSED_PAD src0_sel:DWORD src1_sel:WORD_0
	v_add_co_u32 v8, vcc_lo, 0x1000, v106
	v_add_co_ci_u32_e32 v9, vcc_lo, 0, v107, vcc_lo
	buffer_store_dword v0, off, s[36:39], 0 offset:1352 ; 4-byte Folded Spill
	ds_write_b128 v0, v[114:117]
	ds_write_b128 v0, v[118:121] offset:1440
	ds_write_b128 v0, v[122:125] offset:2880
	v_lshlrev_b32_sdwa v0, v101, v152 dst_sel:DWORD dst_unused:UNUSED_PAD src0_sel:DWORD src1_sel:WORD_0
	v_add_co_u32 v104, s29, s10, v11
	v_add_co_ci_u32_e64 v105, null, s11, 0, s29
	buffer_store_dword v0, off, s[36:39], 0 offset:1348 ; 4-byte Folded Spill
	ds_write_b128 v0, v[126:129] offset:34560
	ds_write_b128 v0, v[130:133] offset:36000
	;; [unrolled: 1-line block ×3, first 2 shown]
	s_waitcnt lgkmcnt(0)
	s_waitcnt_vscnt null, 0x0
	s_barrier
	buffer_gl0_inv
	global_load_dwordx4 v[13:16], v[8:9], off offset:64
	s_waitcnt vmcnt(0)
	buffer_store_dword v13, off, s[36:39], 0 offset:1316 ; 4-byte Folded Spill
	buffer_store_dword v14, off, s[36:39], 0 offset:1320 ; 4-byte Folded Spill
	;; [unrolled: 1-line block ×4, first 2 shown]
	ds_read_b128 v[2:5], v86 offset:12960
	v_add_co_u32 v102, s29, s10, v10
	v_add_co_ci_u32_e64 v103, null, s11, 0, s29
	s_waitcnt lgkmcnt(0)
	v_mul_f64 v[0:1], v[4:5], v[15:16]
	v_fma_f64 v[0:1], v[2:3], v[13:14], -v[0:1]
	v_mul_f64 v[2:3], v[2:3], v[15:16]
	v_fma_f64 v[2:3], v[4:5], v[13:14], v[2:3]
	v_add_co_u32 v4, vcc_lo, 0x1040, v106
	v_add_co_ci_u32_e32 v5, vcc_lo, 0, v107, vcc_lo
	v_add_co_u32 v11, vcc_lo, 0x1000, v104
	v_add_co_ci_u32_e32 v12, vcc_lo, 0, v105, vcc_lo
	global_load_dwordx4 v[17:20], v[4:5], off offset:16
	s_waitcnt vmcnt(0)
	buffer_store_dword v17, off, s[36:39], 0 offset:1332 ; 4-byte Folded Spill
	buffer_store_dword v18, off, s[36:39], 0 offset:1336 ; 4-byte Folded Spill
	;; [unrolled: 1-line block ×4, first 2 shown]
	ds_read_b128 v[13:16], v86 offset:25920
	s_waitcnt lgkmcnt(0)
	v_mul_f64 v[4:5], v[15:16], v[19:20]
	v_mul_f64 v[6:7], v[13:14], v[19:20]
	v_fma_f64 v[4:5], v[13:14], v[17:18], -v[4:5]
	v_fma_f64 v[6:7], v[15:16], v[17:18], v[6:7]
	global_load_dwordx4 v[18:21], v[11:12], off offset:64
	s_waitcnt vmcnt(0)
	buffer_store_dword v18, off, s[36:39], 0 offset:1296 ; 4-byte Folded Spill
	buffer_store_dword v19, off, s[36:39], 0 offset:1300 ; 4-byte Folded Spill
	;; [unrolled: 1-line block ×4, first 2 shown]
	ds_read_b128 v[14:17], v86 offset:14256
	s_waitcnt lgkmcnt(0)
	v_mul_f64 v[11:12], v[16:17], v[20:21]
	v_fma_f64 v[12:13], v[14:15], v[18:19], -v[11:12]
	v_mul_f64 v[14:15], v[14:15], v[20:21]
	v_fma_f64 v[16:17], v[16:17], v[18:19], v[14:15]
	v_add_co_u32 v14, vcc_lo, 0x1040, v104
	v_add_co_ci_u32_e32 v15, vcc_lo, 0, v105, vcc_lo
	v_add_co_u32 v10, vcc_lo, 0x1000, v102
	v_add_co_ci_u32_e32 v11, vcc_lo, 0, v103, vcc_lo
	global_load_dwordx4 v[22:25], v[14:15], off offset:16
	s_waitcnt vmcnt(0)
	buffer_store_dword v22, off, s[36:39], 0 offset:1248 ; 4-byte Folded Spill
	buffer_store_dword v23, off, s[36:39], 0 offset:1252 ; 4-byte Folded Spill
	;; [unrolled: 1-line block ×4, first 2 shown]
	global_load_dwordx4 v[26:29], v[10:11], off offset:64
	ds_read_b128 v[18:21], v86 offset:27216
	s_waitcnt vmcnt(0)
	buffer_store_dword v26, off, s[36:39], 0 offset:1264 ; 4-byte Folded Spill
	buffer_store_dword v27, off, s[36:39], 0 offset:1268 ; 4-byte Folded Spill
	buffer_store_dword v28, off, s[36:39], 0 offset:1272 ; 4-byte Folded Spill
	buffer_store_dword v29, off, s[36:39], 0 offset:1276 ; 4-byte Folded Spill
	s_waitcnt lgkmcnt(0)
	v_mul_f64 v[14:15], v[20:21], v[24:25]
	v_fma_f64 v[14:15], v[18:19], v[22:23], -v[14:15]
	v_mul_f64 v[18:19], v[18:19], v[24:25]
	v_fma_f64 v[18:19], v[20:21], v[22:23], v[18:19]
	ds_read_b128 v[20:23], v86 offset:15552
	v_add_f64 v[112:113], v[16:17], -v[18:19]
	s_waitcnt lgkmcnt(0)
	v_mul_f64 v[10:11], v[22:23], v[28:29]
	v_fma_f64 v[24:25], v[20:21], v[26:27], -v[10:11]
	v_mul_f64 v[10:11], v[20:21], v[28:29]
	v_fma_f64 v[26:27], v[22:23], v[26:27], v[10:11]
	v_add_co_u32 v10, vcc_lo, 0x1040, v102
	v_add_co_ci_u32_e32 v11, vcc_lo, 0, v103, vcc_lo
	v_cmp_gt_u16_e32 vcc_lo, 27, v196
	global_load_dwordx4 v[30:33], v[10:11], off offset:16
	s_waitcnt vmcnt(0)
	buffer_store_dword v30, off, s[36:39], 0 offset:1280 ; 4-byte Folded Spill
	buffer_store_dword v31, off, s[36:39], 0 offset:1284 ; 4-byte Folded Spill
	;; [unrolled: 1-line block ×4, first 2 shown]
	ds_read_b128 v[20:23], v86 offset:28512
	s_waitcnt lgkmcnt(0)
	v_mul_f64 v[10:11], v[22:23], v[32:33]
	v_fma_f64 v[28:29], v[20:21], v[30:31], -v[10:11]
	v_mul_f64 v[10:11], v[20:21], v[32:33]
	v_add_f64 v[117:118], v[24:25], -v[28:29]
	v_fma_f64 v[30:31], v[22:23], v[30:31], v[10:11]
	v_add_co_u32 v10, s29, 0xffffffe5, v197
	v_add_co_ci_u32_e64 v11, null, 0, 0, s28
	v_add_co_ci_u32_e64 v20, null, 0, -1, s29
	v_cndmask_b32_e32 v36, v10, v100, vcc_lo
	v_cndmask_b32_e32 v37, v20, v11, vcc_lo
	v_lshlrev_b64 v[10:11], 5, v[36:37]
	v_add_co_u32 v32, vcc_lo, s10, v10
	v_add_co_ci_u32_e32 v33, vcc_lo, s11, v11, vcc_lo
	v_add_f64 v[115:116], v[26:27], v[30:31]
	v_add_co_u32 v10, vcc_lo, 0x1000, v32
	v_add_co_ci_u32_e32 v11, vcc_lo, 0, v33, vcc_lo
	global_load_dwordx4 v[39:42], v[10:11], off offset:64
	s_waitcnt vmcnt(0)
	buffer_store_dword v39, off, s[36:39], 0 offset:1700 ; 4-byte Folded Spill
	buffer_store_dword v40, off, s[36:39], 0 offset:1704 ; 4-byte Folded Spill
	;; [unrolled: 1-line block ×4, first 2 shown]
	ds_read_b128 v[20:23], v86 offset:16848
	s_waitcnt lgkmcnt(0)
	v_mul_f64 v[10:11], v[22:23], v[41:42]
	v_fma_f64 v[37:38], v[20:21], v[39:40], -v[10:11]
	v_mul_f64 v[10:11], v[20:21], v[41:42]
	v_fma_f64 v[41:42], v[22:23], v[39:40], v[10:11]
	v_add_co_u32 v10, vcc_lo, 0x1040, v32
	v_add_co_ci_u32_e32 v11, vcc_lo, 0, v33, vcc_lo
	global_load_dwordx4 v[32:35], v[10:11], off offset:16
	s_waitcnt vmcnt(0)
	buffer_store_dword v32, off, s[36:39], 0 offset:1684 ; 4-byte Folded Spill
	buffer_store_dword v33, off, s[36:39], 0 offset:1688 ; 4-byte Folded Spill
	;; [unrolled: 1-line block ×4, first 2 shown]
	ds_read_b128 v[20:23], v86 offset:29808
	s_waitcnt lgkmcnt(0)
	v_mul_f64 v[10:11], v[22:23], v[34:35]
	v_fma_f64 v[39:40], v[20:21], v[32:33], -v[10:11]
	v_mul_f64 v[10:11], v[20:21], v[34:35]
	v_fma_f64 v[43:44], v[22:23], v[32:33], v[10:11]
	global_load_dwordx4 v[32:35], v[8:9], off offset:1792
	s_waitcnt vmcnt(0)
	buffer_store_dword v32, off, s[36:39], 0 offset:1716 ; 4-byte Folded Spill
	buffer_store_dword v33, off, s[36:39], 0 offset:1720 ; 4-byte Folded Spill
	;; [unrolled: 1-line block ×4, first 2 shown]
	ds_read_b128 v[8:11], v86 offset:18144
	v_mov_b32_e32 v22, 0x795d
	v_add_f64 v[119:120], v[41:42], v[43:44]
	v_add_f64 v[121:122], v[41:42], -v[43:44]
	s_waitcnt lgkmcnt(0)
	v_mul_f64 v[20:21], v[10:11], v[34:35]
	v_fma_f64 v[45:46], v[8:9], v[32:33], -v[20:21]
	v_mul_f64 v[8:9], v[8:9], v[34:35]
	v_fma_f64 v[47:48], v[10:11], v[32:33], v[8:9]
	v_add_co_u32 v8, vcc_lo, 0x1700, v106
	v_add_co_ci_u32_e32 v9, vcc_lo, 0, v107, vcc_lo
	global_load_dwordx4 v[32:35], v[8:9], off offset:16
	s_waitcnt vmcnt(0)
	buffer_store_dword v32, off, s[36:39], 0 offset:1732 ; 4-byte Folded Spill
	buffer_store_dword v33, off, s[36:39], 0 offset:1736 ; 4-byte Folded Spill
	buffer_store_dword v34, off, s[36:39], 0 offset:1740 ; 4-byte Folded Spill
	buffer_store_dword v35, off, s[36:39], 0 offset:1744 ; 4-byte Folded Spill
	ds_read_b128 v[8:11], v86 offset:31104
	s_waitcnt lgkmcnt(0)
	v_mul_f64 v[20:21], v[10:11], v[34:35]
	v_fma_f64 v[65:66], v[8:9], v[32:33], -v[20:21]
	v_mul_f64 v[8:9], v[8:9], v[34:35]
	v_fma_f64 v[67:68], v[10:11], v[32:33], v[8:9]
	v_add_co_u32 v8, vcc_lo, 0x2000, v106
	v_add_co_ci_u32_e32 v9, vcc_lo, 0, v107, vcc_lo
	global_load_dwordx4 v[32:35], v[8:9], off offset:288
	ds_read_b128 v[8:11], v86 offset:19440
	v_add_f64 v[123:124], v[47:48], v[67:68]
	s_waitcnt vmcnt(0) lgkmcnt(0)
	v_mul_f64 v[20:21], v[10:11], v[34:35]
	v_fma_f64 v[49:50], v[8:9], v[32:33], -v[20:21]
	buffer_store_dword v32, off, s[36:39], 0 offset:1748 ; 4-byte Folded Spill
	buffer_store_dword v33, off, s[36:39], 0 offset:1752 ; 4-byte Folded Spill
	;; [unrolled: 1-line block ×4, first 2 shown]
	ds_read_b128 v[131:134], v86 offset:7776
	ds_read_b128 v[139:142], v86 offset:9072
	;; [unrolled: 1-line block ×4, first 2 shown]
	v_mul_f64 v[8:9], v[8:9], v[34:35]
	v_add_f64 v[34:35], v[16:17], v[18:19]
	v_fma_f64 v[51:52], v[10:11], v[32:33], v[8:9]
	v_add_co_u32 v8, vcc_lo, 0x2120, v106
	v_add_co_ci_u32_e32 v9, vcc_lo, 0, v107, vcc_lo
	global_load_dwordx4 v[247:250], v[8:9], off offset:16
	ds_read_b128 v[8:11], v86 offset:32400
	s_waitcnt vmcnt(0) lgkmcnt(0)
	v_mul_f64 v[20:21], v[10:11], v[249:250]
	v_fma_f64 v[59:60], v[8:9], v[247:248], -v[20:21]
	v_mul_f64 v[8:9], v[8:9], v[249:250]
	v_fma_f64 v[63:64], v[10:11], v[247:248], v[8:9]
	v_mul_u32_u24_sdwa v8, v97, v22 dst_sel:DWORD dst_unused:UNUSED_PAD src0_sel:WORD_0 src1_sel:DWORD
	v_lshrrev_b32_e32 v108, 23, v8
	v_mul_lo_u16 v8, 0x10e, v108
	v_sub_nc_u16 v109, v97, v8
	v_lshlrev_b16 v8, 5, v109
	v_add_f64 v[127:128], v[51:52], v[63:64]
	v_and_b32_e32 v8, 0xffff, v8
	v_add_co_u32 v23, s28, s10, v8
	v_add_co_ci_u32_e64 v32, null, s11, 0, s28
	v_add_co_u32 v8, vcc_lo, 0x1000, v23
	v_add_co_ci_u32_e32 v9, vcc_lo, 0, v32, vcc_lo
	global_load_dwordx4 v[243:246], v[8:9], off offset:64
	ds_read_b128 v[8:11], v86 offset:20736
	s_waitcnt vmcnt(0) lgkmcnt(0)
	v_mul_f64 v[20:21], v[10:11], v[245:246]
	v_fma_f64 v[57:58], v[8:9], v[243:244], -v[20:21]
	v_mul_f64 v[8:9], v[8:9], v[245:246]
	v_fma_f64 v[61:62], v[10:11], v[243:244], v[8:9]
	v_add_co_u32 v8, vcc_lo, 0x1040, v23
	v_add_co_ci_u32_e32 v9, vcc_lo, 0, v32, vcc_lo
	global_load_dwordx4 v[235:238], v[8:9], off offset:16
	ds_read_b128 v[8:11], v86 offset:33696
	s_waitcnt vmcnt(0) lgkmcnt(0)
	v_mul_f64 v[20:21], v[10:11], v[237:238]
	v_fma_f64 v[73:74], v[8:9], v[235:236], -v[20:21]
	v_mul_f64 v[8:9], v[8:9], v[237:238]
	v_fma_f64 v[77:78], v[10:11], v[235:236], v[8:9]
	v_mul_u32_u24_sdwa v8, v96, v22 dst_sel:DWORD dst_unused:UNUSED_PAD src0_sel:WORD_0 src1_sel:DWORD
	v_lshrrev_b32_e32 v8, 23, v8
	v_mul_lo_u16 v8, 0x10e, v8
	v_sub_nc_u16 v110, v96, v8
	v_lshlrev_b16 v8, 5, v110
	v_and_b32_e32 v8, 0xffff, v8
	v_add_co_u32 v23, s28, s10, v8
	v_add_co_ci_u32_e64 v32, null, s11, 0, s28
	v_add_co_u32 v8, vcc_lo, 0x1000, v23
	v_add_co_ci_u32_e32 v9, vcc_lo, 0, v32, vcc_lo
	global_load_dwordx4 v[239:242], v[8:9], off offset:64
	ds_read_b128 v[8:11], v86 offset:22032
	s_waitcnt vmcnt(0) lgkmcnt(0)
	v_mul_f64 v[20:21], v[10:11], v[241:242]
	v_fma_f64 v[53:54], v[8:9], v[239:240], -v[20:21]
	v_mul_f64 v[8:9], v[8:9], v[241:242]
	v_fma_f64 v[55:56], v[10:11], v[239:240], v[8:9]
	v_add_co_u32 v8, vcc_lo, 0x1040, v23
	v_add_co_ci_u32_e32 v9, vcc_lo, 0, v32, vcc_lo
	global_load_dwordx4 v[231:234], v[8:9], off offset:16
	ds_read_b128 v[8:11], v86 offset:34992
	s_waitcnt vmcnt(0) lgkmcnt(0)
	v_mul_f64 v[20:21], v[10:11], v[233:234]
	v_fma_f64 v[79:80], v[8:9], v[231:232], -v[20:21]
	v_mul_f64 v[8:9], v[8:9], v[233:234]
	v_fma_f64 v[83:84], v[10:11], v[231:232], v[8:9]
	v_mul_u32_u24_sdwa v8, v95, v22 dst_sel:DWORD dst_unused:UNUSED_PAD src0_sel:WORD_0 src1_sel:DWORD
	v_lshrrev_b32_e32 v8, 23, v8
	v_mul_lo_u16 v8, 0x10e, v8
	v_sub_nc_u16 v111, v95, v8
	v_lshlrev_b16 v8, 5, v111
	v_and_b32_e32 v8, 0xffff, v8
	v_add_co_u32 v23, s28, s10, v8
	v_add_co_ci_u32_e64 v32, null, s11, 0, s28
	v_add_co_u32 v8, vcc_lo, 0x1000, v23
	v_add_co_ci_u32_e32 v9, vcc_lo, 0, v32, vcc_lo
	global_load_dwordx4 v[227:230], v[8:9], off offset:64
	ds_read_b128 v[8:11], v86 offset:23328
	s_waitcnt vmcnt(0) lgkmcnt(0)
	v_mul_f64 v[20:21], v[10:11], v[229:230]
	v_fma_f64 v[75:76], v[8:9], v[227:228], -v[20:21]
	v_mul_f64 v[8:9], v[8:9], v[229:230]
	v_fma_f64 v[81:82], v[10:11], v[227:228], v[8:9]
	v_add_co_u32 v8, vcc_lo, 0x1040, v23
	v_add_co_ci_u32_e32 v9, vcc_lo, 0, v32, vcc_lo
	v_add_f64 v[32:33], v[0:1], -v[4:5]
	global_load_dwordx4 v[219:222], v[8:9], off offset:16
	ds_read_b128 v[8:11], v86 offset:36288
	s_waitcnt vmcnt(0) lgkmcnt(0)
	v_mul_f64 v[20:21], v[10:11], v[221:222]
	v_fma_f64 v[93:94], v[8:9], v[219:220], -v[20:21]
	v_mul_f64 v[8:9], v[8:9], v[221:222]
	v_fma_f64 v[87:88], v[10:11], v[219:220], v[8:9]
	v_mul_u32_u24_sdwa v8, v85, v22 dst_sel:DWORD dst_unused:UNUSED_PAD src0_sel:WORD_0 src1_sel:DWORD
	v_lshrrev_b32_e32 v8, 23, v8
	v_mul_lo_u16 v8, 0x10e, v8
	v_sub_nc_u16 v114, v85, v8
	v_lshlrev_b16 v8, 5, v114
	v_and_b32_e32 v8, 0xffff, v8
	v_add_co_u32 v22, s28, s10, v8
	v_add_co_ci_u32_e64 v23, null, s11, 0, s28
	v_add_co_u32 v8, vcc_lo, 0x1000, v22
	v_add_co_ci_u32_e32 v9, vcc_lo, 0, v23, vcc_lo
	global_load_dwordx4 v[223:226], v[8:9], off offset:64
	ds_read_b128 v[8:11], v86 offset:24624
	s_waitcnt vmcnt(0) lgkmcnt(0)
	v_mul_f64 v[20:21], v[10:11], v[225:226]
	v_fma_f64 v[69:70], v[8:9], v[223:224], -v[20:21]
	v_mul_f64 v[8:9], v[8:9], v[225:226]
	v_fma_f64 v[71:72], v[10:11], v[223:224], v[8:9]
	v_add_co_u32 v8, vcc_lo, 0x1040, v22
	v_add_co_ci_u32_e32 v9, vcc_lo, 0, v23, vcc_lo
	v_add_f64 v[22:23], v[2:3], v[6:7]
	v_cmp_lt_u16_e32 vcc_lo, 26, v196
	global_load_dwordx4 v[215:218], v[8:9], off offset:16
	ds_read_b128 v[8:11], v86 offset:37584
	s_waitcnt vmcnt(0) lgkmcnt(0)
	v_mul_f64 v[20:21], v[10:11], v[217:218]
	v_fma_f64 v[89:90], v[8:9], v[215:216], -v[20:21]
	v_mul_f64 v[8:9], v[8:9], v[217:218]
	v_add_f64 v[20:21], v[0:1], v[4:5]
	v_fma_f64 v[91:92], v[10:11], v[215:216], v[8:9]
	ds_read_b128 v[8:11], v86
	s_waitcnt lgkmcnt(0)
	v_fma_f64 v[20:21], v[20:21], -0.5, v[8:9]
	v_fma_f64 v[22:23], v[22:23], -0.5, v[10:11]
	v_add_f64 v[10:11], v[10:11], v[2:3]
	v_add_f64 v[8:9], v[8:9], v[0:1]
	v_add_f64 v[2:3], v[2:3], -v[6:7]
	v_add_f64 v[10:11], v[10:11], v[6:7]
	v_add_f64 v[8:9], v[8:9], v[4:5]
	v_fma_f64 v[4:5], v[2:3], s[8:9], v[20:21]
	v_fma_f64 v[0:1], v[2:3], s[6:7], v[20:21]
	;; [unrolled: 1-line block ×4, first 2 shown]
	v_add_f64 v[32:33], v[12:13], v[14:15]
	ds_read_b128 v[20:23], v86 offset:1296
	s_waitcnt lgkmcnt(0)
	v_fma_f64 v[34:35], v[34:35], -0.5, v[22:23]
	v_fma_f64 v[32:33], v[32:33], -0.5, v[20:21]
	v_add_f64 v[20:21], v[20:21], v[12:13]
	v_add_f64 v[22:23], v[22:23], v[16:17]
	;; [unrolled: 1-line block ×3, first 2 shown]
	v_add_f64 v[14:15], v[12:13], -v[14:15]
	v_fma_f64 v[20:21], v[112:113], s[8:9], v[32:33]
	v_fma_f64 v[12:13], v[112:113], s[6:7], v[32:33]
	v_add_f64 v[112:113], v[24:25], v[28:29]
	v_add_f64 v[18:19], v[22:23], v[18:19]
	v_fma_f64 v[22:23], v[14:15], s[6:7], v[34:35]
	v_fma_f64 v[14:15], v[14:15], s[8:9], v[34:35]
	ds_read_b128 v[32:35], v86 offset:2592
	s_waitcnt lgkmcnt(0)
	v_fma_f64 v[112:113], v[112:113], -0.5, v[32:33]
	v_fma_f64 v[115:116], v[115:116], -0.5, v[34:35]
	v_add_f64 v[34:35], v[34:35], v[26:27]
	v_add_f64 v[32:33], v[32:33], v[24:25]
	v_add_f64 v[26:27], v[26:27], -v[30:31]
	v_add_f64 v[34:35], v[34:35], v[30:31]
	v_add_f64 v[32:33], v[32:33], v[28:29]
	v_fma_f64 v[28:29], v[26:27], s[8:9], v[112:113]
	v_fma_f64 v[24:25], v[26:27], s[6:7], v[112:113]
	;; [unrolled: 1-line block ×4, first 2 shown]
	ds_read_b128 v[115:118], v86 offset:3888
	v_add_f64 v[112:113], v[37:38], v[39:40]
	s_waitcnt lgkmcnt(0)
	v_fma_f64 v[119:120], v[119:120], -0.5, v[117:118]
	v_add_f64 v[117:118], v[117:118], v[41:42]
	v_fma_f64 v[112:113], v[112:113], -0.5, v[115:116]
	v_add_f64 v[115:116], v[115:116], v[37:38]
	v_add_f64 v[43:44], v[117:118], v[43:44]
	v_add_f64 v[117:118], v[37:38], -v[39:40]
	v_fma_f64 v[37:38], v[121:122], s[8:9], v[112:113]
	v_add_f64 v[41:42], v[115:116], v[39:40]
	v_fma_f64 v[115:116], v[121:122], s[6:7], v[112:113]
	v_add_f64 v[112:113], v[45:46], v[65:66]
	v_fma_f64 v[39:40], v[117:118], s[6:7], v[119:120]
	v_fma_f64 v[117:118], v[117:118], s[8:9], v[119:120]
	ds_read_b128 v[119:122], v86 offset:5184
	s_waitcnt lgkmcnt(0)
	v_fma_f64 v[123:124], v[123:124], -0.5, v[121:122]
	v_add_f64 v[121:122], v[121:122], v[47:48]
	v_fma_f64 v[112:113], v[112:113], -0.5, v[119:120]
	v_add_f64 v[119:120], v[119:120], v[45:46]
	v_add_f64 v[47:48], v[47:48], -v[67:68]
	v_add_f64 v[121:122], v[121:122], v[67:68]
	v_add_f64 v[67:68], v[45:46], -v[65:66]
	v_add_f64 v[119:120], v[119:120], v[65:66]
	v_fma_f64 v[45:46], v[47:48], s[8:9], v[112:113]
	v_fma_f64 v[65:66], v[47:48], s[6:7], v[112:113]
	v_add_f64 v[112:113], v[49:50], v[59:60]
	v_fma_f64 v[47:48], v[67:68], s[6:7], v[123:124]
	v_fma_f64 v[67:68], v[67:68], s[8:9], v[123:124]
	ds_read_b128 v[123:126], v86 offset:6480
	s_waitcnt lgkmcnt(0)
	s_waitcnt_vscnt null, 0x0
	s_barrier
	buffer_gl0_inv
	ds_write_b128 v86, v[8:11]
	ds_write_b128 v86, v[4:7] offset:4320
	ds_write_b128 v86, v[0:3] offset:8640
	;; [unrolled: 1-line block ×8, first 2 shown]
	v_cndmask_b32_e64 v0, 0, 0x32a, vcc_lo
	v_add_lshl_u32 v0, v36, v0, 4
	buffer_store_dword v0, off, s[36:39], 0 offset:1780 ; 4-byte Folded Spill
	v_fma_f64 v[112:113], v[112:113], -0.5, v[123:124]
	v_add_f64 v[123:124], v[123:124], v[49:50]
	v_fma_f64 v[129:130], v[127:128], -0.5, v[125:126]
	v_add_f64 v[125:126], v[125:126], v[51:52]
	v_add_f64 v[51:52], v[51:52], -v[63:64]
	v_add_f64 v[123:124], v[123:124], v[59:60]
	v_add_f64 v[59:60], v[49:50], -v[59:60]
	v_add_f64 v[125:126], v[125:126], v[63:64]
	v_fma_f64 v[49:50], v[51:52], s[8:9], v[112:113]
	v_fma_f64 v[127:128], v[51:52], s[6:7], v[112:113]
	;; [unrolled: 1-line block ×4, first 2 shown]
	v_add_f64 v[59:60], v[57:58], v[73:74]
	ds_write_b128 v0, v[41:44]
	ds_write_b128 v0, v[37:40] offset:4320
	ds_write_b128 v0, v[115:118] offset:8640
	;; [unrolled: 1-line block ×8, first 2 shown]
	v_mad_u16 v0, 0x32a, v108, v109
	v_lshlrev_b32_sdwa v0, v101, v0 dst_sel:DWORD dst_unused:UNUSED_PAD src0_sel:DWORD src1_sel:WORD_0
	v_fma_f64 v[63:64], v[59:60], -0.5, v[131:132]
	v_add_f64 v[59:60], v[61:62], v[77:78]
	v_add_f64 v[131:132], v[131:132], v[57:58]
	v_add_f64 v[57:58], v[57:58], -v[73:74]
	buffer_store_dword v0, off, s[36:39], 0 offset:1776 ; 4-byte Folded Spill
	v_fma_f64 v[112:113], v[59:60], -0.5, v[133:134]
	v_add_f64 v[59:60], v[133:134], v[61:62]
	v_add_f64 v[133:134], v[61:62], -v[77:78]
	v_fma_f64 v[137:138], v[57:58], s[8:9], v[112:113]
	v_add_f64 v[61:62], v[59:60], v[77:78]
	v_add_f64 v[59:60], v[131:132], v[73:74]
	v_fma_f64 v[131:132], v[133:134], s[8:9], v[63:64]
	v_fma_f64 v[135:136], v[133:134], s[6:7], v[63:64]
	;; [unrolled: 1-line block ×3, first 2 shown]
	v_add_f64 v[57:58], v[53:54], v[79:80]
	v_add_f64 v[77:78], v[139:140], v[53:54]
	v_add_f64 v[112:113], v[55:56], -v[83:84]
	v_add_f64 v[53:54], v[53:54], -v[79:80]
	ds_write_b128 v0, v[59:62]
	ds_write_b128 v0, v[131:134] offset:4320
	ds_write_b128 v0, v[135:138] offset:8640
	v_lshlrev_b32_sdwa v0, v101, v110 dst_sel:DWORD dst_unused:UNUSED_PAD src0_sel:DWORD src1_sel:WORD_0
	v_fma_f64 v[63:64], v[57:58], -0.5, v[139:140]
	v_add_f64 v[57:58], v[55:56], v[83:84]
	buffer_store_dword v0, off, s[36:39], 0 offset:1772 ; 4-byte Folded Spill
	v_fma_f64 v[139:140], v[112:113], s[6:7], v[63:64]
	v_fma_f64 v[73:74], v[57:58], -0.5, v[141:142]
	v_add_f64 v[57:58], v[141:142], v[55:56]
	v_add_f64 v[55:56], v[77:78], v[79:80]
	v_fma_f64 v[77:78], v[112:113], s[8:9], v[63:64]
	v_add_f64 v[63:64], v[81:82], v[87:88]
	v_add_f64 v[112:113], v[143:144], v[75:76]
	v_fma_f64 v[79:80], v[53:54], s[6:7], v[73:74]
	v_fma_f64 v[141:142], v[53:54], s[8:9], v[73:74]
	v_add_f64 v[53:54], v[75:76], v[93:94]
	v_add_f64 v[73:74], v[145:146], v[81:82]
	;; [unrolled: 1-line block ×3, first 2 shown]
	v_fma_f64 v[63:64], v[63:64], -0.5, v[145:146]
	ds_write_b128 v0, v[55:58] offset:25920
	ds_write_b128 v0, v[77:80] offset:30240
	ds_write_b128 v0, v[139:142] offset:34560
	v_fma_f64 v[53:54], v[53:54], -0.5, v[143:144]
	v_add_f64 v[143:144], v[81:82], -v[87:88]
	v_add_f64 v[83:84], v[73:74], v[87:88]
	v_add_f64 v[87:88], v[75:76], -v[93:94]
	v_add_f64 v[81:82], v[112:113], v[93:94]
	v_add_f64 v[112:113], v[147:148], v[69:70]
	v_lshlrev_b32_sdwa v0, v101, v111 dst_sel:DWORD dst_unused:UNUSED_PAD src0_sel:DWORD src1_sel:WORD_0
	buffer_store_dword v0, off, s[36:39], 0 offset:1768 ; 4-byte Folded Spill
	v_fma_f64 v[73:74], v[143:144], s[8:9], v[53:54]
	v_fma_f64 v[143:144], v[143:144], s[6:7], v[53:54]
	;; [unrolled: 1-line block ×4, first 2 shown]
	v_add_f64 v[53:54], v[69:70], v[89:90]
	v_add_f64 v[63:64], v[71:72], v[91:92]
	;; [unrolled: 1-line block ×3, first 2 shown]
	v_add_f64 v[71:72], v[71:72], -v[91:92]
	ds_write_b128 v0, v[81:84] offset:25920
	ds_write_b128 v0, v[73:76] offset:30240
	;; [unrolled: 1-line block ×3, first 2 shown]
	v_lshlrev_b32_sdwa v0, v101, v114 dst_sel:DWORD dst_unused:UNUSED_PAD src0_sel:DWORD src1_sel:WORD_0
	v_fma_f64 v[53:54], v[53:54], -0.5, v[147:148]
	v_fma_f64 v[63:64], v[63:64], -0.5, v[149:150]
	v_add_f64 v[93:94], v[87:88], v[91:92]
	v_add_f64 v[91:92], v[112:113], v[89:90]
	v_add_f64 v[89:90], v[69:70], -v[89:90]
	buffer_store_dword v0, off, s[36:39], 0 offset:1764 ; 4-byte Folded Spill
	v_fma_f64 v[69:70], v[71:72], s[8:9], v[53:54]
	v_fma_f64 v[87:88], v[71:72], s[6:7], v[53:54]
	;; [unrolled: 1-line block ×4, first 2 shown]
	ds_write_b128 v0, v[91:94] offset:25920
	ds_write_b128 v0, v[69:72] offset:30240
	;; [unrolled: 1-line block ×3, first 2 shown]
	v_add_co_u32 v0, vcc_lo, 0x3000, v106
	v_add_co_ci_u32_e32 v1, vcc_lo, 0, v107, vcc_lo
	s_waitcnt lgkmcnt(0)
	s_waitcnt_vscnt null, 0x0
	s_barrier
	buffer_gl0_inv
	global_load_dwordx4 v[155:158], v[0:1], off offset:512
	ds_read_b128 v[2:5], v86 offset:12960
	ds_read_b128 v[118:121], v86 offset:7776
	;; [unrolled: 1-line block ×5, first 2 shown]
	s_waitcnt vmcnt(0) lgkmcnt(4)
	v_mul_f64 v[0:1], v[4:5], v[157:158]
	v_fma_f64 v[0:1], v[2:3], v[155:156], -v[0:1]
	v_mul_f64 v[2:3], v[2:3], v[157:158]
	v_fma_f64 v[2:3], v[4:5], v[155:156], v[2:3]
	v_add_co_u32 v4, vcc_lo, 0x3200, v106
	v_add_co_ci_u32_e32 v5, vcc_lo, 0, v107, vcc_lo
	global_load_dwordx4 v[207:210], v[4:5], off offset:16
	s_waitcnt vmcnt(0) lgkmcnt(2)
	v_mul_f64 v[4:5], v[8:9], v[209:210]
	v_fma_f64 v[4:5], v[6:7], v[207:208], -v[4:5]
	v_mul_f64 v[6:7], v[6:7], v[209:210]
	v_fma_f64 v[6:7], v[8:9], v[207:208], v[6:7]
	v_add_co_u32 v8, vcc_lo, 0x3000, v104
	v_add_co_ci_u32_e32 v9, vcc_lo, 0, v105, vcc_lo
	global_load_dwordx4 v[211:214], v[8:9], off offset:512
	ds_read_b128 v[8:11], v86 offset:14256
	s_waitcnt vmcnt(0) lgkmcnt(0)
	v_mul_f64 v[12:13], v[10:11], v[213:214]
	v_fma_f64 v[12:13], v[8:9], v[211:212], -v[12:13]
	v_mul_f64 v[8:9], v[8:9], v[213:214]
	v_fma_f64 v[14:15], v[10:11], v[211:212], v[8:9]
	v_add_co_u32 v8, vcc_lo, 0x3200, v104
	v_add_co_ci_u32_e32 v9, vcc_lo, 0, v105, vcc_lo
	global_load_dwordx4 v[203:206], v[8:9], off offset:16
	ds_read_b128 v[8:11], v86 offset:27216
	;; [unrolled: 9-line block ×3, first 2 shown]
	s_waitcnt vmcnt(0) lgkmcnt(0)
	v_mul_f64 v[18:19], v[10:11], v[201:202]
	v_fma_f64 v[24:25], v[8:9], v[199:200], -v[18:19]
	v_mul_f64 v[8:9], v[8:9], v[201:202]
	v_fma_f64 v[26:27], v[10:11], v[199:200], v[8:9]
	v_add_co_u32 v8, vcc_lo, 0x3200, v102
	v_add_co_ci_u32_e32 v9, vcc_lo, 0, v103, vcc_lo
	ds_read_b128 v[102:105], v86 offset:5184
	global_load_dwordx4 v[191:194], v[8:9], off offset:16
	ds_read_b128 v[8:11], v86 offset:28512
	s_waitcnt vmcnt(0) lgkmcnt(0)
	v_mul_f64 v[18:19], v[10:11], v[193:194]
	v_fma_f64 v[28:29], v[8:9], v[191:192], -v[18:19]
	v_mul_f64 v[8:9], v[8:9], v[193:194]
	v_fma_f64 v[30:31], v[10:11], v[191:192], v[8:9]
	v_lshlrev_b32_e32 v8, 5, v100
	v_add_co_u32 v22, s28, s10, v8
	v_add_co_ci_u32_e64 v23, null, s11, 0, s28
	v_add_co_u32 v8, vcc_lo, 0x3000, v22
	v_add_co_ci_u32_e32 v9, vcc_lo, 0, v23, vcc_lo
	global_load_dwordx4 v[195:198], v[8:9], off offset:512
	ds_read_b128 v[8:11], v86 offset:16848
	s_waitcnt vmcnt(0) lgkmcnt(0)
	v_mul_f64 v[18:19], v[10:11], v[197:198]
	v_fma_f64 v[36:37], v[8:9], v[195:196], -v[18:19]
	v_mul_f64 v[8:9], v[8:9], v[197:198]
	v_fma_f64 v[38:39], v[10:11], v[195:196], v[8:9]
	v_add_co_u32 v8, vcc_lo, 0x3200, v22
	v_add_co_ci_u32_e32 v9, vcc_lo, 0, v23, vcc_lo
	global_load_dwordx4 v[187:190], v[8:9], off offset:16
	ds_read_b128 v[8:11], v86 offset:29808
	s_waitcnt vmcnt(0) lgkmcnt(0)
	v_mul_f64 v[18:19], v[10:11], v[189:190]
	v_fma_f64 v[52:53], v[8:9], v[187:188], -v[18:19]
	v_mul_f64 v[8:9], v[8:9], v[189:190]
	v_fma_f64 v[58:59], v[10:11], v[187:188], v[8:9]
	v_lshlrev_b32_e32 v8, 5, v99
	v_add_co_u32 v22, s28, s10, v8
	v_add_co_ci_u32_e64 v23, null, s11, 0, s28
	v_add_co_u32 v8, vcc_lo, 0x3000, v22
	v_add_co_ci_u32_e32 v9, vcc_lo, 0, v23, vcc_lo
	global_load_dwordx4 v[183:186], v[8:9], off offset:512
	ds_read_b128 v[8:11], v86 offset:18144
	s_waitcnt vmcnt(0) lgkmcnt(0)
	v_mul_f64 v[18:19], v[10:11], v[185:186]
	v_fma_f64 v[46:47], v[8:9], v[183:184], -v[18:19]
	v_mul_f64 v[8:9], v[8:9], v[185:186]
	v_fma_f64 v[50:51], v[10:11], v[183:184], v[8:9]
	v_add_co_u32 v8, vcc_lo, 0x3200, v22
	v_add_co_ci_u32_e32 v9, vcc_lo, 0, v23, vcc_lo
	;; [unrolled: 21-line block ×5, first 2 shown]
	global_load_dwordx4 v[159:162], v[8:9], off offset:16
	ds_read_b128 v[8:11], v86 offset:34992
	s_waitcnt vmcnt(0) lgkmcnt(0)
	v_mul_f64 v[18:19], v[10:11], v[161:162]
	v_fma_f64 v[76:77], v[8:9], v[159:160], -v[18:19]
	v_mul_f64 v[8:9], v[8:9], v[161:162]
	v_fma_f64 v[78:79], v[10:11], v[159:160], v[8:9]
	v_lshlrev_b32_e32 v8, 5, v95
	ds_read_b128 v[94:97], v86 offset:3888
	v_add_co_u32 v22, s28, s10, v8
	v_add_co_ci_u32_e64 v23, null, s11, 0, s28
	v_add_co_u32 v8, vcc_lo, 0x3000, v22
	v_add_co_ci_u32_e32 v9, vcc_lo, 0, v23, vcc_lo
	global_load_dwordx4 v[150:153], v[8:9], off offset:512
	ds_read_b128 v[8:11], v86 offset:23328
	s_waitcnt vmcnt(0) lgkmcnt(0)
	v_mul_f64 v[18:19], v[10:11], v[152:153]
	v_fma_f64 v[66:67], v[8:9], v[150:151], -v[18:19]
	v_mul_f64 v[8:9], v[8:9], v[152:153]
	v_fma_f64 v[72:73], v[10:11], v[150:151], v[8:9]
	v_add_co_u32 v8, vcc_lo, 0x3200, v22
	v_add_co_ci_u32_e32 v9, vcc_lo, 0, v23, vcc_lo
	global_load_dwordx4 v[146:149], v[8:9], off offset:16
	ds_read_b128 v[8:11], v86 offset:36288
	s_waitcnt vmcnt(0) lgkmcnt(0)
	v_mul_f64 v[18:19], v[10:11], v[148:149]
	v_fma_f64 v[88:89], v[8:9], v[146:147], -v[18:19]
	v_mul_f64 v[8:9], v[8:9], v[148:149]
	v_fma_f64 v[90:91], v[10:11], v[146:147], v[8:9]
	v_lshlrev_b32_e32 v8, 5, v85
	v_add_co_u32 v22, s10, s10, v8
	v_add_co_ci_u32_e64 v23, null, s11, 0, s10
	v_add_co_u32 v8, vcc_lo, 0x3000, v22
	v_add_co_ci_u32_e32 v9, vcc_lo, 0, v23, vcc_lo
	global_load_dwordx4 v[142:145], v[8:9], off offset:512
	ds_read_b128 v[8:11], v86 offset:24624
	s_waitcnt vmcnt(0) lgkmcnt(0)
	v_mul_f64 v[18:19], v[10:11], v[144:145]
	v_fma_f64 v[54:55], v[8:9], v[142:143], -v[18:19]
	v_mul_f64 v[8:9], v[8:9], v[144:145]
	v_fma_f64 v[60:61], v[10:11], v[142:143], v[8:9]
	v_add_co_u32 v8, vcc_lo, 0x3200, v22
	v_add_co_ci_u32_e32 v9, vcc_lo, 0, v23, vcc_lo
	v_add_f64 v[22:23], v[2:3], v[6:7]
	global_load_dwordx4 v[138:141], v[8:9], off offset:16
	ds_read_b128 v[8:11], v86 offset:37584
	s_waitcnt vmcnt(0) lgkmcnt(0)
	v_mul_f64 v[18:19], v[10:11], v[140:141]
	v_fma_f64 v[84:85], v[8:9], v[138:139], -v[18:19]
	v_mul_f64 v[8:9], v[8:9], v[140:141]
	v_add_f64 v[18:19], v[0:1], v[4:5]
	v_fma_f64 v[92:93], v[10:11], v[138:139], v[8:9]
	ds_read_b128 v[8:11], v86
	s_waitcnt lgkmcnt(0)
	v_fma_f64 v[18:19], v[18:19], -0.5, v[8:9]
	v_fma_f64 v[22:23], v[22:23], -0.5, v[10:11]
	v_add_f64 v[10:11], v[10:11], v[2:3]
	v_add_f64 v[8:9], v[8:9], v[0:1]
	v_add_f64 v[2:3], v[2:3], -v[6:7]
	v_add_f64 v[0:1], v[0:1], -v[4:5]
	v_add_f64 v[128:129], v[10:11], v[6:7]
	v_add_f64 v[126:127], v[8:9], v[4:5]
	v_fma_f64 v[130:131], v[2:3], s[8:9], v[18:19]
	v_fma_f64 v[134:135], v[2:3], s[6:7], v[18:19]
	v_add_f64 v[2:3], v[14:15], v[16:17]
	v_add_f64 v[4:5], v[34:35], v[14:15]
	v_fma_f64 v[132:133], v[0:1], s[6:7], v[22:23]
	v_fma_f64 v[136:137], v[0:1], s[8:9], v[22:23]
	v_add_f64 v[0:1], v[12:13], v[20:21]
	v_add_f64 v[6:7], v[32:33], v[12:13]
	v_add_f64 v[8:9], v[14:15], -v[16:17]
	v_fma_f64 v[2:3], v[2:3], -0.5, v[34:35]
	v_add_f64 v[112:113], v[4:5], v[16:17]
	v_add_f64 v[4:5], v[12:13], -v[20:21]
	v_fma_f64 v[0:1], v[0:1], -0.5, v[32:33]
	ds_read_b128 v[32:35], v86 offset:2592
	v_add_f64 v[110:111], v[6:7], v[20:21]
	v_fma_f64 v[22:23], v[4:5], s[6:7], v[2:3]
	v_fma_f64 v[124:125], v[4:5], s[8:9], v[2:3]
	v_add_f64 v[2:3], v[26:27], v[30:31]
	s_waitcnt lgkmcnt(0)
	v_add_f64 v[4:5], v[34:35], v[26:27]
	v_fma_f64 v[20:21], v[8:9], s[8:9], v[0:1]
	v_fma_f64 v[122:123], v[8:9], s[6:7], v[0:1]
	v_add_f64 v[0:1], v[24:25], v[28:29]
	v_add_f64 v[6:7], v[32:33], v[24:25]
	v_add_f64 v[8:9], v[26:27], -v[30:31]
	v_fma_f64 v[2:3], v[2:3], -0.5, v[34:35]
	v_add_f64 v[34:35], v[4:5], v[30:31]
	v_add_f64 v[4:5], v[24:25], -v[28:29]
	v_fma_f64 v[0:1], v[0:1], -0.5, v[32:33]
	v_add_f64 v[32:33], v[6:7], v[28:29]
	v_add_f64 v[6:7], v[94:95], v[36:37]
	v_fma_f64 v[30:31], v[4:5], s[6:7], v[2:3]
	v_fma_f64 v[26:27], v[4:5], s[8:9], v[2:3]
	v_add_f64 v[2:3], v[38:39], v[58:59]
	v_add_f64 v[4:5], v[96:97], v[38:39]
	v_fma_f64 v[28:29], v[8:9], s[8:9], v[0:1]
	v_fma_f64 v[24:25], v[8:9], s[6:7], v[0:1]
	v_add_f64 v[0:1], v[36:37], v[52:53]
	v_add_f64 v[8:9], v[38:39], -v[58:59]
	v_fma_f64 v[2:3], v[2:3], -0.5, v[96:97]
	v_add_f64 v[96:97], v[4:5], v[58:59]
	v_add_f64 v[4:5], v[36:37], -v[52:53]
	v_fma_f64 v[0:1], v[0:1], -0.5, v[94:95]
	v_add_f64 v[94:95], v[6:7], v[52:53]
	v_add_f64 v[6:7], v[102:103], v[46:47]
	v_fma_f64 v[38:39], v[4:5], s[6:7], v[2:3]
	v_fma_f64 v[100:101], v[4:5], s[8:9], v[2:3]
	v_add_f64 v[2:3], v[50:51], v[74:75]
	v_add_f64 v[4:5], v[104:105], v[50:51]
	v_fma_f64 v[36:37], v[8:9], s[8:9], v[0:1]
	v_fma_f64 v[98:99], v[8:9], s[6:7], v[0:1]
	v_add_f64 v[0:1], v[46:47], v[70:71]
	v_add_f64 v[8:9], v[50:51], -v[74:75]
	v_add_f64 v[50:51], v[6:7], v[70:71]
	v_add_f64 v[6:7], v[114:115], v[40:41]
	v_fma_f64 v[2:3], v[2:3], -0.5, v[104:105]
	v_add_f64 v[52:53], v[4:5], v[74:75]
	v_add_f64 v[4:5], v[46:47], -v[70:71]
	v_fma_f64 v[0:1], v[0:1], -0.5, v[102:103]
	v_fma_f64 v[104:105], v[4:5], s[6:7], v[2:3]
	v_fma_f64 v[108:109], v[4:5], s[8:9], v[2:3]
	v_add_f64 v[2:3], v[42:43], v[68:69]
	v_add_f64 v[4:5], v[116:117], v[42:43]
	v_fma_f64 v[102:103], v[8:9], s[8:9], v[0:1]
	v_fma_f64 v[106:107], v[8:9], s[6:7], v[0:1]
	v_add_f64 v[0:1], v[40:41], v[64:65]
	v_add_f64 v[8:9], v[42:43], -v[68:69]
	v_fma_f64 v[2:3], v[2:3], -0.5, v[116:117]
	v_add_f64 v[70:71], v[4:5], v[68:69]
	v_add_f64 v[4:5], v[40:41], -v[64:65]
	v_add_f64 v[68:69], v[6:7], v[64:65]
	v_fma_f64 v[0:1], v[0:1], -0.5, v[114:115]
	v_add_f64 v[6:7], v[118:119], v[56:57]
	v_fma_f64 v[42:43], v[4:5], s[6:7], v[2:3]
	v_fma_f64 v[116:117], v[4:5], s[8:9], v[2:3]
	v_add_f64 v[2:3], v[62:63], v[82:83]
	v_add_f64 v[4:5], v[120:121], v[62:63]
	v_fma_f64 v[40:41], v[8:9], s[8:9], v[0:1]
	v_fma_f64 v[114:115], v[8:9], s[6:7], v[0:1]
	v_add_f64 v[0:1], v[56:57], v[80:81]
	v_add_f64 v[8:9], v[62:63], -v[82:83]
	v_add_f64 v[62:63], v[6:7], v[80:81]
	v_fma_f64 v[2:3], v[2:3], -0.5, v[120:121]
	v_add_f64 v[64:65], v[4:5], v[82:83]
	v_add_f64 v[4:5], v[56:57], -v[80:81]
	v_fma_f64 v[0:1], v[0:1], -0.5, v[118:119]
	ds_read_b128 v[118:121], v86 offset:9072
	v_fma_f64 v[58:59], v[4:5], s[6:7], v[2:3]
	v_fma_f64 v[82:83], v[4:5], s[8:9], v[2:3]
	v_add_f64 v[2:3], v[48:49], v[78:79]
	s_waitcnt lgkmcnt(0)
	v_add_f64 v[4:5], v[120:121], v[48:49]
	v_fma_f64 v[56:57], v[8:9], s[8:9], v[0:1]
	v_fma_f64 v[80:81], v[8:9], s[6:7], v[0:1]
	v_add_f64 v[0:1], v[44:45], v[76:77]
	v_add_f64 v[6:7], v[118:119], v[44:45]
	v_add_f64 v[8:9], v[48:49], -v[78:79]
	v_fma_f64 v[2:3], v[2:3], -0.5, v[120:121]
	v_add_f64 v[48:49], v[4:5], v[78:79]
	v_add_f64 v[4:5], v[44:45], -v[76:77]
	v_add_f64 v[44:45], v[60:61], -v[92:93]
	v_fma_f64 v[0:1], v[0:1], -0.5, v[118:119]
	v_add_f64 v[46:47], v[6:7], v[76:77]
	v_add_f64 v[6:7], v[72:73], v[90:91]
	v_fma_f64 v[76:77], v[4:5], s[6:7], v[2:3]
	v_fma_f64 v[120:121], v[4:5], s[8:9], v[2:3]
	v_add_f64 v[4:5], v[66:67], v[88:89]
	v_fma_f64 v[74:75], v[8:9], s[8:9], v[0:1]
	v_fma_f64 v[118:119], v[8:9], s[6:7], v[0:1]
	ds_read_b128 v[0:3], v86 offset:10368
	v_add_f64 v[8:9], v[72:73], -v[90:91]
	s_waitcnt lgkmcnt(0)
	v_fma_f64 v[4:5], v[4:5], -0.5, v[0:1]
	v_add_f64 v[0:1], v[0:1], v[66:67]
	v_fma_f64 v[6:7], v[6:7], -0.5, v[2:3]
	v_add_f64 v[2:3], v[2:3], v[72:73]
	v_fma_f64 v[16:17], v[8:9], s[6:7], v[4:5]
	v_add_f64 v[12:13], v[0:1], v[88:89]
	v_add_f64 v[0:1], v[66:67], -v[88:89]
	v_fma_f64 v[87:88], v[8:9], s[8:9], v[4:5]
	v_add_f64 v[4:5], v[54:55], v[84:85]
	v_add_f64 v[14:15], v[2:3], v[90:91]
	v_fma_f64 v[89:90], v[0:1], s[6:7], v[6:7]
	v_fma_f64 v[18:19], v[0:1], s[8:9], v[6:7]
	ds_read_b128 v[0:3], v86 offset:11664
	s_waitcnt lgkmcnt(0)
	v_fma_f64 v[8:9], v[4:5], -0.5, v[0:1]
	v_add_f64 v[4:5], v[60:61], v[92:93]
	v_add_f64 v[0:1], v[0:1], v[54:55]
	v_add_f64 v[54:55], v[54:55], -v[84:85]
	v_fma_f64 v[10:11], v[4:5], -0.5, v[2:3]
	v_add_f64 v[2:3], v[2:3], v[60:61]
	v_add_f64 v[4:5], v[0:1], v[84:85]
	v_fma_f64 v[0:1], v[44:45], s[8:9], v[8:9]
	v_fma_f64 v[8:9], v[44:45], s[6:7], v[8:9]
	v_add_f64 v[6:7], v[2:3], v[92:93]
	v_fma_f64 v[2:3], v[54:55], s[6:7], v[10:11]
	v_fma_f64 v[10:11], v[54:55], s[8:9], v[10:11]
	ds_write_b128 v86, v[126:129]
	ds_write_b128 v86, v[130:133] offset:12960
	ds_write_b128 v86, v[134:137] offset:25920
	;; [unrolled: 1-line block ×29, first 2 shown]
	s_waitcnt lgkmcnt(0)
	s_barrier
	buffer_gl0_inv
	s_clause 0x1
	buffer_load_dword v0, off, s[36:39], 0 offset:1676
	buffer_load_dword v1, off, s[36:39], 0 offset:1680
	ds_read_b128 v[4:7], v86
	ds_read_b128 v[112:115], v86 offset:6480
	v_add_co_u32 v80, vcc_lo, 0xa000, v154
	v_add_co_ci_u32_e32 v81, vcc_lo, 0, v251, vcc_lo
	v_add_co_u32 v84, vcc_lo, 0xb000, v154
	v_add_co_ci_u32_e32 v85, vcc_lo, 0, v251, vcc_lo
	;; [unrolled: 2-line block ×3, first 2 shown]
	ds_read_b128 v[120:123], v86 offset:29808
	ds_read_b128 v[126:129], v86 offset:33696
	;; [unrolled: 1-line block ×3, first 2 shown]
	s_waitcnt vmcnt(0)
	global_load_dwordx4 v[0:3], v[0:1], off offset:2016
	s_waitcnt vmcnt(0) lgkmcnt(4)
	v_mul_f64 v[8:9], v[6:7], v[2:3]
	v_mul_f64 v[2:3], v[4:5], v[2:3]
	v_fma_f64 v[76:77], v[4:5], v[0:1], -v[8:9]
	v_fma_f64 v[78:79], v[6:7], v[0:1], v[2:3]
	global_load_dwordx4 v[0:3], v[80:81], off offset:1808
	ds_read_b128 v[4:7], v86 offset:3888
	s_waitcnt vmcnt(0) lgkmcnt(0)
	v_mul_f64 v[8:9], v[6:7], v[2:3]
	v_mul_f64 v[2:3], v[4:5], v[2:3]
	v_fma_f64 v[72:73], v[4:5], v[0:1], -v[8:9]
	v_fma_f64 v[74:75], v[6:7], v[0:1], v[2:3]
	global_load_dwordx4 v[0:3], v[84:85], off offset:1600
	ds_read_b128 v[4:7], v86 offset:7776
	;; [unrolled: 7-line block ×3, first 2 shown]
	s_waitcnt vmcnt(0) lgkmcnt(0)
	v_mul_f64 v[8:9], v[6:7], v[2:3]
	v_mul_f64 v[2:3], v[4:5], v[2:3]
	v_fma_f64 v[64:65], v[4:5], v[0:1], -v[8:9]
	v_fma_f64 v[66:67], v[6:7], v[0:1], v[2:3]
	v_add_co_u32 v0, vcc_lo, 0xd000, v154
	v_add_co_ci_u32_e32 v1, vcc_lo, 0, v251, vcc_lo
	ds_read_b128 v[4:7], v86 offset:15552
	global_load_dwordx4 v[0:3], v[0:1], off offset:1184
	s_waitcnt vmcnt(0) lgkmcnt(0)
	v_mul_f64 v[8:9], v[6:7], v[2:3]
	v_mul_f64 v[2:3], v[4:5], v[2:3]
	v_fma_f64 v[60:61], v[4:5], v[0:1], -v[8:9]
	v_fma_f64 v[62:63], v[6:7], v[0:1], v[2:3]
	v_add_co_u32 v0, vcc_lo, 0xe000, v154
	v_add_co_ci_u32_e32 v1, vcc_lo, 0, v251, vcc_lo
	ds_read_b128 v[4:7], v86 offset:19440
	global_load_dwordx4 v[0:3], v[0:1], off offset:976
	;; [unrolled: 9-line block ×4, first 2 shown]
	s_waitcnt vmcnt(0) lgkmcnt(0)
	v_mul_f64 v[10:11], v[8:9], v[4:5]
	v_mul_f64 v[4:5], v[6:7], v[4:5]
	v_fma_f64 v[48:49], v[6:7], v[2:3], -v[10:11]
	v_fma_f64 v[50:51], v[8:9], v[2:3], v[4:5]
	v_add_co_u32 v2, vcc_lo, 0x11000, v154
	v_add_co_ci_u32_e32 v3, vcc_lo, 0, v251, vcc_lo
	ds_read_b128 v[8:11], v86 offset:31104
	v_add_co_u32 v82, vcc_lo, 0x12000, v154
	global_load_dwordx4 v[4:7], v[2:3], off offset:352
	v_add_co_ci_u32_e32 v83, vcc_lo, 0, v251, vcc_lo
	global_load_dwordx4 v[106:109], v[82:83], off offset:1440
	s_waitcnt vmcnt(1) lgkmcnt(0)
	v_mul_f64 v[12:13], v[10:11], v[6:7]
	v_mul_f64 v[6:7], v[8:9], v[6:7]
	v_fma_f64 v[44:45], v[8:9], v[4:5], -v[12:13]
	v_fma_f64 v[46:47], v[10:11], v[4:5], v[6:7]
	global_load_dwordx4 v[4:7], v[82:83], off offset:144
	ds_read_b128 v[8:11], v86 offset:34992
	s_waitcnt vmcnt(0) lgkmcnt(0)
	v_mul_f64 v[12:13], v[10:11], v[6:7]
	v_mul_f64 v[6:7], v[8:9], v[6:7]
	v_fma_f64 v[40:41], v[8:9], v[4:5], -v[12:13]
	v_fma_f64 v[42:43], v[10:11], v[4:5], v[6:7]
	v_add_co_u32 v4, vcc_lo, 0x97e0, v154
	v_add_co_ci_u32_e32 v5, vcc_lo, 0, v251, vcc_lo
	ds_read_b128 v[8:11], v86 offset:1296
	global_load_dwordx4 v[4:7], v[4:5], off offset:1296
	s_waitcnt vmcnt(0) lgkmcnt(0)
	v_mul_f64 v[12:13], v[10:11], v[6:7]
	v_mul_f64 v[6:7], v[8:9], v[6:7]
	v_fma_f64 v[36:37], v[8:9], v[4:5], -v[12:13]
	v_fma_f64 v[38:39], v[10:11], v[4:5], v[6:7]
	v_add_co_u32 v4, vcc_lo, 0xa800, v154
	v_add_co_ci_u32_e32 v5, vcc_lo, 0, v251, vcc_lo
	ds_read_b128 v[8:11], v86 offset:5184
	global_load_dwordx4 v[4:7], v[4:5], off offset:1056
	s_waitcnt vmcnt(0) lgkmcnt(0)
	v_mul_f64 v[12:13], v[10:11], v[6:7]
	v_mul_f64 v[6:7], v[8:9], v[6:7]
	v_fma_f64 v[32:33], v[8:9], v[4:5], -v[12:13]
	v_fma_f64 v[34:35], v[10:11], v[4:5], v[6:7]
	v_add_co_u32 v4, vcc_lo, 0xb800, v154
	v_add_co_ci_u32_e32 v5, vcc_lo, 0, v251, vcc_lo
	ds_read_b128 v[8:11], v86 offset:9072
	v_add_co_u32 v92, vcc_lo, 0xc800, v154
	global_load_dwordx4 v[4:7], v[4:5], off offset:848
	v_add_co_ci_u32_e32 v93, vcc_lo, 0, v251, vcc_lo
	v_add_co_u32 v96, vcc_lo, 0xd800, v154
	v_add_co_ci_u32_e32 v97, vcc_lo, 0, v251, vcc_lo
	v_add_co_u32 v100, vcc_lo, 0xe800, v154
	;; [unrolled: 2-line block ×3, first 2 shown]
	v_add_co_ci_u32_e32 v105, vcc_lo, 0, v251, vcc_lo
	s_waitcnt vmcnt(0) lgkmcnt(0)
	v_mul_f64 v[12:13], v[10:11], v[6:7]
	v_mul_f64 v[6:7], v[8:9], v[6:7]
	v_fma_f64 v[28:29], v[8:9], v[4:5], -v[12:13]
	v_fma_f64 v[30:31], v[10:11], v[4:5], v[6:7]
	global_load_dwordx4 v[4:7], v[92:93], off offset:640
	ds_read_b128 v[8:11], v86 offset:12960
	s_waitcnt vmcnt(0) lgkmcnt(0)
	v_mul_f64 v[12:13], v[10:11], v[6:7]
	v_mul_f64 v[6:7], v[8:9], v[6:7]
	v_fma_f64 v[24:25], v[8:9], v[4:5], -v[12:13]
	v_fma_f64 v[26:27], v[10:11], v[4:5], v[6:7]
	global_load_dwordx4 v[4:7], v[96:97], off offset:432
	ds_read_b128 v[8:11], v86 offset:16848
	;; [unrolled: 7-line block ×5, first 2 shown]
	s_waitcnt vmcnt(0) lgkmcnt(0)
	v_mul_f64 v[0:1], v[10:11], v[6:7]
	v_mul_f64 v[6:7], v[8:9], v[6:7]
	v_fma_f64 v[8:9], v[8:9], v[4:5], -v[0:1]
	global_load_dwordx4 v[0:3], v[2:3], off offset:1648
	v_fma_f64 v[10:11], v[10:11], v[4:5], v[6:7]
	ds_read_b128 v[4:7], v86 offset:32400
	s_waitcnt vmcnt(0) lgkmcnt(0)
	v_mul_f64 v[90:91], v[6:7], v[2:3]
	v_mul_f64 v[2:3], v[4:5], v[2:3]
	v_fma_f64 v[4:5], v[4:5], v[0:1], -v[90:91]
	v_fma_f64 v[6:7], v[6:7], v[0:1], v[2:3]
	ds_read_b128 v[0:3], v86 offset:36288
	s_waitcnt lgkmcnt(0)
	v_mul_f64 v[82:83], v[2:3], v[108:109]
	v_mul_f64 v[90:91], v[0:1], v[108:109]
	v_fma_f64 v[0:1], v[0:1], v[106:107], -v[82:83]
	v_fma_f64 v[2:3], v[2:3], v[106:107], v[90:91]
	global_load_dwordx4 v[106:109], v[80:81], off offset:512
	ds_read_b128 v[80:83], v86 offset:2592
	s_waitcnt vmcnt(0) lgkmcnt(0)
	v_mul_f64 v[90:91], v[82:83], v[108:109]
	v_mul_f64 v[94:95], v[80:81], v[108:109]
	global_load_dwordx4 v[108:111], v[84:85], off offset:304
	v_fma_f64 v[80:81], v[80:81], v[106:107], -v[90:91]
	v_fma_f64 v[82:83], v[82:83], v[106:107], v[94:95]
	s_waitcnt vmcnt(0)
	v_mul_f64 v[84:85], v[114:115], v[110:111]
	v_mul_f64 v[90:91], v[112:113], v[110:111]
	v_fma_f64 v[106:107], v[112:113], v[108:109], -v[84:85]
	global_load_dwordx4 v[110:113], v[88:89], off offset:96
	v_fma_f64 v[108:109], v[114:115], v[108:109], v[90:91]
	ds_read_b128 v[88:91], v86 offset:10368
	ds_read_b128 v[114:117], v86 offset:25920
	s_waitcnt vmcnt(0) lgkmcnt(1)
	v_mul_f64 v[84:85], v[90:91], v[112:113]
	v_mul_f64 v[94:95], v[88:89], v[112:113]
	v_fma_f64 v[88:89], v[88:89], v[110:111], -v[84:85]
	v_fma_f64 v[90:91], v[90:91], v[110:111], v[94:95]
	global_load_dwordx4 v[110:113], v[92:93], off offset:1936
	ds_read_b128 v[92:95], v86 offset:14256
	s_waitcnt vmcnt(0) lgkmcnt(0)
	v_mul_f64 v[84:85], v[94:95], v[112:113]
	v_mul_f64 v[98:99], v[92:93], v[112:113]
	v_fma_f64 v[92:93], v[92:93], v[110:111], -v[84:85]
	v_fma_f64 v[94:95], v[94:95], v[110:111], v[98:99]
	global_load_dwordx4 v[110:113], v[96:97], off offset:1728
	;; [unrolled: 7-line block ×4, first 2 shown]
	s_waitcnt vmcnt(0)
	v_mul_f64 v[84:85], v[116:117], v[112:113]
	v_mul_f64 v[104:105], v[114:115], v[112:113]
	v_fma_f64 v[112:113], v[114:115], v[110:111], -v[84:85]
	v_add_co_u32 v84, vcc_lo, 0x10800, v154
	v_add_co_ci_u32_e32 v85, vcc_lo, 0, v251, vcc_lo
	v_fma_f64 v[114:115], v[116:117], v[110:111], v[104:105]
	global_load_dwordx4 v[116:119], v[84:85], off offset:1104
	s_waitcnt vmcnt(0)
	v_mul_f64 v[84:85], v[122:123], v[118:119]
	v_mul_f64 v[104:105], v[120:121], v[118:119]
	v_fma_f64 v[118:119], v[120:121], v[116:117], -v[84:85]
	v_add_co_u32 v84, vcc_lo, 0x11800, v154
	v_add_co_ci_u32_e32 v85, vcc_lo, 0, v251, vcc_lo
	v_fma_f64 v[120:121], v[122:123], v[116:117], v[104:105]
	global_load_dwordx4 v[122:125], v[84:85], off offset:896
	;; [unrolled: 8-line block ×3, first 2 shown]
	s_waitcnt vmcnt(0)
	v_mul_f64 v[84:85], v[134:135], v[130:131]
	v_mul_f64 v[104:105], v[132:133], v[130:131]
	v_fma_f64 v[130:131], v[132:133], v[128:129], -v[84:85]
	v_fma_f64 v[132:133], v[134:135], v[128:129], v[104:105]
	ds_write_b128 v86, v[76:79]
	ds_write_b128 v86, v[72:75] offset:3888
	ds_write_b128 v86, v[68:71] offset:7776
	;; [unrolled: 1-line block ×29, first 2 shown]
	s_waitcnt lgkmcnt(0)
	s_barrier
	buffer_gl0_inv
	ds_read_b128 v[0:3], v86
	ds_read_b128 v[4:7], v86 offset:7776
	ds_read_b128 v[8:11], v86 offset:15552
	s_waitcnt lgkmcnt(1)
	v_add_f64 v[12:13], v[0:1], v[4:5]
	s_waitcnt lgkmcnt(0)
	v_add_f64 v[24:25], v[4:5], -v[8:9]
	v_add_f64 v[26:27], v[8:9], -v[4:5]
	v_add_f64 v[32:33], v[6:7], -v[10:11]
	v_add_f64 v[34:35], v[10:11], -v[6:7]
	v_add_f64 v[16:17], v[12:13], v[8:9]
	v_add_f64 v[12:13], v[2:3], v[6:7]
	;; [unrolled: 1-line block ×3, first 2 shown]
	ds_read_b128 v[12:15], v86 offset:23328
	s_waitcnt lgkmcnt(0)
	v_add_f64 v[20:21], v[8:9], v[12:13]
	v_add_f64 v[22:23], v[10:11], -v[14:15]
	v_add_f64 v[28:29], v[10:11], v[14:15]
	v_add_f64 v[30:31], v[8:9], -v[12:13]
	ds_read_b128 v[8:11], v86 offset:31104
	v_fma_f64 v[20:21], v[20:21], -0.5, v[0:1]
	s_waitcnt lgkmcnt(0)
	v_add_f64 v[36:37], v[6:7], -v[10:11]
	v_add_f64 v[38:39], v[4:5], v[8:9]
	v_add_f64 v[40:41], v[4:5], -v[8:9]
	v_add_f64 v[42:43], v[6:7], v[10:11]
	v_add_f64 v[4:5], v[16:17], v[12:13]
	;; [unrolled: 1-line block ×3, first 2 shown]
	v_add_f64 v[44:45], v[8:9], -v[12:13]
	v_add_f64 v[46:47], v[12:13], -v[8:9]
	;; [unrolled: 1-line block ×4, first 2 shown]
	v_fma_f64 v[28:29], v[28:29], -0.5, v[2:3]
	v_fma_f64 v[0:1], v[38:39], -0.5, v[0:1]
	;; [unrolled: 1-line block ×3, first 2 shown]
	v_add_f64 v[52:53], v[4:5], v[8:9]
	v_add_f64 v[54:55], v[6:7], v[10:11]
	ds_read_b128 v[4:7], v86 offset:3888
	ds_read_b128 v[8:11], v86 offset:11664
	;; [unrolled: 1-line block ×3, first 2 shown]
	v_add_f64 v[26:27], v[26:27], v[46:47]
	s_waitcnt lgkmcnt(1)
	v_add_f64 v[16:17], v[4:5], v[8:9]
	s_waitcnt lgkmcnt(0)
	v_add_f64 v[64:65], v[8:9], -v[12:13]
	v_add_f64 v[66:67], v[12:13], -v[8:9]
	;; [unrolled: 1-line block ×4, first 2 shown]
	v_add_f64 v[56:57], v[16:17], v[12:13]
	v_add_f64 v[16:17], v[6:7], v[10:11]
	;; [unrolled: 1-line block ×3, first 2 shown]
	ds_read_b128 v[16:19], v86 offset:27216
	s_waitcnt lgkmcnt(0)
	v_add_f64 v[68:69], v[14:15], v[18:19]
	v_add_f64 v[56:57], v[56:57], v[16:17]
	;; [unrolled: 1-line block ×3, first 2 shown]
	v_add_f64 v[62:63], v[14:15], -v[18:19]
	v_add_f64 v[70:71], v[12:13], -v[16:17]
	ds_read_b128 v[12:15], v86 offset:34992
	v_add_f64 v[58:59], v[58:59], v[18:19]
	v_fma_f64 v[38:39], v[68:69], -0.5, v[6:7]
	v_fma_f64 v[42:43], v[60:61], -0.5, v[4:5]
	s_waitcnt lgkmcnt(0)
	v_add_f64 v[78:79], v[8:9], v[12:13]
	v_add_f64 v[8:9], v[8:9], -v[12:13]
	v_add_f64 v[80:81], v[12:13], -v[16:17]
	v_add_f64 v[16:17], v[16:17], -v[12:13]
	v_add_f64 v[12:13], v[56:57], v[12:13]
	v_add_f64 v[76:77], v[10:11], -v[14:15]
	v_add_f64 v[10:11], v[10:11], v[14:15]
	v_add_f64 v[82:83], v[14:15], -v[18:19]
	v_add_f64 v[18:19], v[18:19], -v[14:15]
	v_add_f64 v[14:15], v[58:59], v[14:15]
	v_fma_f64 v[4:5], v[78:79], -0.5, v[4:5]
	v_add_f64 v[16:17], v[66:67], v[16:17]
	v_add_f64 v[111:112], v[52:53], v[12:13]
	v_add_f64 v[119:120], v[52:53], -v[12:13]
	v_add_f64 v[12:13], v[32:33], v[48:49]
	v_fma_f64 v[32:33], v[8:9], s[18:19], v[38:39]
	v_fma_f64 v[6:7], v[10:11], -0.5, v[6:7]
	v_add_f64 v[10:11], v[24:25], v[44:45]
	v_add_f64 v[24:25], v[72:73], v[82:83]
	v_fma_f64 v[44:45], v[76:77], s[20:21], v[42:43]
	v_add_f64 v[113:114], v[54:55], v[14:15]
	v_add_f64 v[121:122], v[54:55], -v[14:15]
	v_add_f64 v[14:15], v[64:65], v[80:81]
	v_fma_f64 v[52:53], v[40:41], s[18:19], v[28:29]
	v_add_f64 v[18:19], v[74:75], v[18:19]
	v_fma_f64 v[32:33], v[70:71], s[12:13], v[32:33]
	v_fma_f64 v[44:45], v[62:63], s[16:17], v[44:45]
	;; [unrolled: 1-line block ×6, first 2 shown]
	v_mul_f64 v[48:49], v[32:33], s[16:17]
	v_fma_f64 v[48:49], v[44:45], s[22:23], v[48:49]
	v_mul_f64 v[44:45], v[44:45], s[12:13]
	v_fma_f64 v[32:33], v[32:33], s[22:23], v[44:45]
	v_fma_f64 v[44:45], v[36:37], s[20:21], v[20:21]
	v_add_f64 v[105:106], v[52:53], v[32:33]
	v_fma_f64 v[44:45], v[22:23], s[16:17], v[44:45]
	v_add_f64 v[117:118], v[52:53], -v[32:33]
	v_add_f64 v[32:33], v[34:35], v[50:51]
	v_fma_f64 v[34:35], v[70:71], s[20:21], v[6:7]
	v_fma_f64 v[6:7], v[70:71], s[18:19], v[6:7]
	;; [unrolled: 1-line block ×5, first 2 shown]
	v_add_f64 v[103:104], v[44:45], v[48:49]
	v_add_f64 v[115:116], v[44:45], -v[48:49]
	v_fma_f64 v[44:45], v[62:63], s[18:19], v[4:5]
	v_fma_f64 v[34:35], v[18:19], s[14:15], v[34:35]
	;; [unrolled: 1-line block ×7, first 2 shown]
	v_mul_f64 v[46:47], v[34:35], s[20:21]
	v_mul_f64 v[34:35], v[34:35], s[14:15]
	v_fma_f64 v[4:5], v[76:77], s[12:13], v[4:5]
	v_fma_f64 v[48:49], v[40:41], s[12:13], v[48:49]
	;; [unrolled: 1-line block ×5, first 2 shown]
	v_mul_f64 v[16:17], v[6:7], s[20:21]
	v_mul_f64 v[6:7], v[6:7], s[24:25]
	v_fma_f64 v[2:3], v[32:33], s[14:15], v[2:3]
	v_fma_f64 v[48:49], v[32:33], s[14:15], v[48:49]
	;; [unrolled: 1-line block ×9, first 2 shown]
	v_add_f64 v[97:98], v[48:49], v[34:35]
	v_fma_f64 v[44:45], v[36:37], s[16:17], v[44:45]
	v_fma_f64 v[0:1], v[36:37], s[12:13], v[0:1]
	v_add_f64 v[109:110], v[48:49], -v[34:35]
	v_add_f64 v[89:90], v[2:3], v[4:5]
	v_add_f64 v[101:102], v[2:3], -v[4:5]
	v_fma_f64 v[2:3], v[36:37], s[18:19], v[20:21]
	v_fma_f64 v[4:5], v[40:41], s[20:21], v[28:29]
	;; [unrolled: 1-line block ×8, first 2 shown]
	v_add_f64 v[95:96], v[44:45], v[46:47]
	v_add_f64 v[87:88], v[0:1], v[16:17]
	v_add_f64 v[99:100], v[0:1], -v[16:17]
	v_fma_f64 v[0:1], v[8:9], s[20:21], v[38:39]
	v_add_f64 v[107:108], v[44:45], -v[46:47]
	v_fma_f64 v[2:3], v[10:11], s[14:15], v[2:3]
	v_fma_f64 v[4:5], v[12:13], s[14:15], v[4:5]
	;; [unrolled: 1-line block ×4, first 2 shown]
	v_mul_f64 v[8:9], v[0:1], s[16:17]
	v_mul_f64 v[0:1], v[0:1], s[26:27]
	v_fma_f64 v[8:9], v[6:7], s[26:27], v[8:9]
	v_fma_f64 v[0:1], v[6:7], s[12:13], v[0:1]
	v_add_f64 v[80:81], v[2:3], v[8:9]
	v_add_f64 v[82:83], v[4:5], v[0:1]
	v_add_f64 v[91:92], v[2:3], -v[8:9]
	v_add_f64 v[93:94], v[4:5], -v[0:1]
	ds_read_b128 v[32:35], v86 offset:1296
	ds_read_b128 v[36:39], v86 offset:5184
	;; [unrolled: 1-line block ×20, first 2 shown]
	s_waitcnt lgkmcnt(0)
	s_barrier
	buffer_gl0_inv
	buffer_load_dword v84, off, s[36:39], 0 offset:1372 ; 4-byte Folded Reload
	s_waitcnt vmcnt(0)
	ds_write_b128 v84, v[111:114]
	ds_write_b128 v84, v[103:106] offset:16
	ds_write_b128 v84, v[95:98] offset:32
	;; [unrolled: 1-line block ×9, first 2 shown]
	v_add_f64 v[80:81], v[32:33], v[12:13]
	v_add_f64 v[82:83], v[34:35], v[14:15]
	;; [unrolled: 1-line block ×3, first 2 shown]
	v_add_f64 v[89:90], v[12:13], -v[4:5]
	v_add_f64 v[91:92], v[4:5], -v[12:13]
	;; [unrolled: 1-line block ×5, first 2 shown]
	v_add_f64 v[93:94], v[6:7], v[10:11]
	v_add_f64 v[97:98], v[14:15], -v[6:7]
	v_add_f64 v[99:100], v[6:7], -v[14:15]
	v_add_f64 v[101:102], v[14:15], -v[2:3]
	v_add_f64 v[105:106], v[10:11], -v[2:3]
	v_add_f64 v[113:114], v[22:23], v[26:27]
	v_add_f64 v[109:110], v[28:29], -v[20:21]
	v_add_f64 v[111:112], v[20:21], -v[28:29]
	v_add_f64 v[119:120], v[28:29], v[16:17]
	v_add_f64 v[121:122], v[28:29], -v[16:17]
	v_add_f64 v[107:108], v[22:23], -v[26:27]
	;; [unrolled: 1-line block ×5, first 2 shown]
	v_add_f64 v[80:81], v[80:81], v[4:5]
	v_add_f64 v[82:83], v[82:83], v[6:7]
	;; [unrolled: 1-line block ×4, first 2 shown]
	v_fma_f64 v[84:85], v[84:85], -0.5, v[32:33]
	v_fma_f64 v[93:94], v[93:94], -0.5, v[34:35]
	;; [unrolled: 1-line block ×3, first 2 shown]
	v_add_f64 v[12:13], v[80:81], v[8:9]
	v_add_f64 v[14:15], v[82:83], v[10:11]
	v_add_f64 v[80:81], v[0:1], -v[8:9]
	v_add_f64 v[82:83], v[8:9], -v[0:1]
	;; [unrolled: 1-line block ×3, first 2 shown]
	v_fma_f64 v[32:33], v[4:5], -0.5, v[32:33]
	v_fma_f64 v[34:35], v[6:7], -0.5, v[34:35]
	v_add_f64 v[10:11], v[12:13], v[0:1]
	v_add_f64 v[0:1], v[36:37], v[28:29]
	;; [unrolled: 1-line block ×7, first 2 shown]
	v_add_f64 v[20:21], v[30:31], -v[22:23]
	v_add_f64 v[2:3], v[2:3], v[22:23]
	v_add_f64 v[22:23], v[22:23], -v[30:31]
	v_add_f64 v[30:31], v[16:17], -v[24:25]
	v_fma_f64 v[125:126], v[14:15], -0.5, v[36:37]
	v_fma_f64 v[28:29], v[28:29], -0.5, v[38:39]
	v_add_f64 v[38:39], v[89:90], v[80:81]
	v_add_f64 v[80:81], v[97:98], v[8:9]
	v_fma_f64 v[8:9], v[121:122], s[18:19], v[113:114]
	v_fma_f64 v[36:37], v[119:120], -0.5, v[36:37]
	v_add_f64 v[0:1], v[0:1], v[24:25]
	v_add_f64 v[24:25], v[24:25], -v[16:17]
	v_add_f64 v[2:3], v[2:3], v[26:27]
	v_add_f64 v[97:98], v[20:21], v[123:124]
	v_add_f64 v[26:27], v[26:27], -v[18:19]
	v_add_f64 v[89:90], v[109:110], v[30:31]
	v_add_f64 v[30:31], v[91:92], v[82:83]
	;; [unrolled: 1-line block ×3, first 2 shown]
	v_fma_f64 v[8:9], v[115:116], s[12:13], v[8:9]
	v_add_f64 v[16:17], v[0:1], v[16:17]
	v_add_f64 v[24:25], v[111:112], v[24:25]
	;; [unrolled: 1-line block ×4, first 2 shown]
	v_fma_f64 v[8:9], v[97:98], s[14:15], v[8:9]
	v_add_f64 v[0:1], v[10:11], v[16:17]
	v_add_f64 v[4:5], v[10:11], -v[16:17]
	v_fma_f64 v[10:11], v[117:118], s[20:21], v[125:126]
	v_add_f64 v[2:3], v[12:13], v[18:19]
	v_add_f64 v[6:7], v[12:13], -v[18:19]
	v_mul_f64 v[12:13], v[8:9], s[16:17]
	v_fma_f64 v[10:11], v[107:108], s[16:17], v[10:11]
	v_fma_f64 v[10:11], v[89:90], s[14:15], v[10:11]
	;; [unrolled: 1-line block ×3, first 2 shown]
	v_mul_f64 v[10:11], v[10:11], s[12:13]
	v_fma_f64 v[14:15], v[8:9], s[22:23], v[10:11]
	v_fma_f64 v[8:9], v[101:102], s[20:21], v[84:85]
	;; [unrolled: 1-line block ×7, first 2 shown]
	v_add_f64 v[8:9], v[16:17], v[12:13]
	v_add_f64 v[12:13], v[16:17], -v[12:13]
	v_fma_f64 v[16:17], v[115:116], s[20:21], v[28:29]
	v_add_f64 v[10:11], v[18:19], v[14:15]
	v_add_f64 v[14:15], v[18:19], -v[14:15]
	v_fma_f64 v[18:19], v[107:108], s[18:19], v[36:37]
	v_fma_f64 v[28:29], v[115:116], s[18:19], v[28:29]
	;; [unrolled: 1-line block ×10, first 2 shown]
	v_mul_f64 v[20:21], v[16:17], s[20:21]
	v_mul_f64 v[16:17], v[16:17], s[14:15]
	v_fma_f64 v[28:29], v[117:118], s[12:13], v[28:29]
	v_fma_f64 v[36:37], v[95:96], s[16:17], v[36:37]
	;; [unrolled: 1-line block ×8, first 2 shown]
	v_mul_f64 v[28:29], v[26:27], s[20:21]
	v_mul_f64 v[26:27], v[26:27], s[24:25]
	v_fma_f64 v[80:81], v[80:81], s[14:15], v[36:37]
	v_fma_f64 v[16:17], v[101:102], s[16:17], v[16:17]
	;; [unrolled: 1-line block ×10, first 2 shown]
	v_add_f64 v[16:17], v[91:92], v[20:21]
	v_add_f64 v[24:25], v[30:31], v[28:29]
	v_fma_f64 v[32:33], v[103:104], s[16:17], v[32:33]
	v_add_f64 v[28:29], v[30:31], -v[28:29]
	v_add_f64 v[18:19], v[99:100], v[22:23]
	v_add_f64 v[20:21], v[91:92], -v[20:21]
	v_add_f64 v[22:23], v[99:100], -v[22:23]
	v_fma_f64 v[32:33], v[82:83], s[14:15], v[32:33]
	v_fma_f64 v[82:83], v[117:118], s[18:19], v[125:126]
	v_add_f64 v[26:27], v[32:33], v[34:35]
	v_add_f64 v[30:31], v[32:33], -v[34:35]
	v_fma_f64 v[32:33], v[121:122], s[20:21], v[113:114]
	v_fma_f64 v[34:35], v[101:102], s[18:19], v[84:85]
	;; [unrolled: 1-line block ×8, first 2 shown]
	v_mul_f64 v[36:37], v[32:33], s[16:17]
	v_mul_f64 v[32:33], v[32:33], s[26:27]
	v_fma_f64 v[36:37], v[34:35], s[26:27], v[36:37]
	v_fma_f64 v[82:83], v[34:35], s[12:13], v[32:33]
	v_add_f64 v[32:33], v[38:39], v[36:37]
	v_add_f64 v[34:35], v[80:81], v[82:83]
	v_add_f64 v[36:37], v[38:39], -v[36:37]
	v_add_f64 v[38:39], v[80:81], -v[82:83]
	buffer_load_dword v80, off, s[36:39], 0 offset:1312 ; 4-byte Folded Reload
	s_waitcnt vmcnt(0)
	ds_write_b128 v80, v[0:3]
	ds_write_b128 v80, v[8:11] offset:16
	ds_write_b128 v80, v[16:19] offset:32
	;; [unrolled: 1-line block ×9, first 2 shown]
	v_add_f64 v[2:3], v[46:47], v[62:63]
	v_add_f64 v[0:1], v[44:45], v[60:61]
	v_add_f64 v[4:5], v[68:69], v[64:65]
	v_add_f64 v[8:9], v[60:61], -v[68:69]
	v_add_f64 v[16:17], v[68:69], -v[60:61]
	;; [unrolled: 1-line block ×4, first 2 shown]
	v_add_f64 v[6:7], v[70:71], v[66:67]
	v_add_f64 v[10:11], v[62:63], -v[70:71]
	v_add_f64 v[18:19], v[70:71], -v[62:63]
	;; [unrolled: 1-line block ×3, first 2 shown]
	v_add_f64 v[12:13], v[60:61], v[72:73]
	v_add_f64 v[38:39], v[60:61], -v[72:73]
	v_add_f64 v[14:15], v[62:63], v[74:75]
	v_add_f64 v[20:21], v[72:73], -v[64:65]
	v_add_f64 v[22:23], v[64:65], -v[72:73]
	;; [unrolled: 1-line block ×4, first 2 shown]
	v_add_f64 v[60:61], v[56:57], v[52:53]
	v_add_f64 v[62:63], v[58:59], -v[54:55]
	v_add_f64 v[82:83], v[78:79], -v[54:55]
	;; [unrolled: 1-line block ×3, first 2 shown]
	v_add_f64 v[2:3], v[2:3], v[70:71]
	v_add_f64 v[0:1], v[0:1], v[68:69]
	v_add_f64 v[68:69], v[58:59], v[54:55]
	v_add_f64 v[70:71], v[50:51], -v[58:59]
	v_fma_f64 v[84:85], v[4:5], -0.5, v[44:45]
	v_fma_f64 v[87:88], v[6:7], -0.5, v[46:47]
	;; [unrolled: 1-line block ×4, first 2 shown]
	v_add_f64 v[26:27], v[18:19], v[26:27]
	v_fma_f64 v[60:61], v[60:61], -0.5, v[40:41]
	v_add_f64 v[2:3], v[2:3], v[66:67]
	v_add_f64 v[0:1], v[0:1], v[64:65]
	v_add_f64 v[64:65], v[48:49], -v[56:57]
	v_add_f64 v[66:67], v[56:57], -v[48:49]
	v_fma_f64 v[68:69], v[68:69], -0.5, v[42:43]
	v_add_f64 v[70:71], v[70:71], v[82:83]
	v_add_f64 v[30:31], v[2:3], v[74:75]
	;; [unrolled: 1-line block ×5, first 2 shown]
	v_add_f64 v[72:73], v[50:51], -v[78:79]
	v_add_f64 v[74:75], v[48:49], v[76:77]
	v_add_f64 v[48:49], v[48:49], -v[76:77]
	v_add_f64 v[64:65], v[64:65], v[80:81]
	v_add_f64 v[2:3], v[2:3], v[58:59]
	v_add_f64 v[58:59], v[58:59], -v[50:51]
	v_add_f64 v[50:51], v[50:51], v[78:79]
	v_add_f64 v[0:1], v[0:1], v[56:57]
	v_add_f64 v[56:57], v[56:57], -v[52:53]
	v_fma_f64 v[40:41], v[74:75], -0.5, v[40:41]
	v_add_f64 v[74:75], v[10:11], v[24:25]
	v_fma_f64 v[10:11], v[72:73], s[20:21], v[60:61]
	v_add_f64 v[2:3], v[2:3], v[54:55]
	v_add_f64 v[54:55], v[54:55], -v[78:79]
	v_fma_f64 v[42:43], v[50:51], -0.5, v[42:43]
	v_add_f64 v[50:51], v[8:9], v[20:21]
	v_fma_f64 v[8:9], v[48:49], s[18:19], v[68:69]
	v_add_f64 v[0:1], v[0:1], v[52:53]
	v_add_f64 v[52:53], v[52:53], -v[76:77]
	v_fma_f64 v[10:11], v[62:63], s[16:17], v[10:11]
	v_fma_f64 v[18:19], v[62:63], s[18:19], v[40:41]
	v_add_f64 v[78:79], v[2:3], v[78:79]
	v_fma_f64 v[8:9], v[56:57], s[12:13], v[8:9]
	v_add_f64 v[76:77], v[0:1], v[76:77]
	v_fma_f64 v[10:11], v[64:65], s[14:15], v[10:11]
	v_fma_f64 v[18:19], v[72:73], s[16:17], v[18:19]
	v_add_f64 v[2:3], v[30:31], v[78:79]
	v_add_f64 v[6:7], v[30:31], -v[78:79]
	v_add_f64 v[30:31], v[58:59], v[54:55]
	v_fma_f64 v[8:9], v[70:71], s[14:15], v[8:9]
	v_add_f64 v[0:1], v[28:29], v[76:77]
	v_add_f64 v[4:5], v[28:29], -v[76:77]
	v_add_f64 v[28:29], v[66:67], v[52:53]
	v_mul_f64 v[12:13], v[8:9], s[16:17]
	v_fma_f64 v[18:19], v[28:29], s[14:15], v[18:19]
	v_fma_f64 v[12:13], v[10:11], s[22:23], v[12:13]
	v_mul_f64 v[10:11], v[10:11], s[12:13]
	v_fma_f64 v[14:15], v[8:9], s[22:23], v[10:11]
	v_fma_f64 v[10:11], v[38:39], s[18:19], v[87:88]
	;; [unrolled: 1-line block ×7, first 2 shown]
	v_add_f64 v[10:11], v[24:25], v[14:15]
	v_add_f64 v[14:15], v[24:25], -v[14:15]
	v_add_f64 v[24:25], v[16:17], v[22:23]
	v_fma_f64 v[16:17], v[56:57], s[20:21], v[42:43]
	v_add_f64 v[8:9], v[20:21], v[12:13]
	v_add_f64 v[12:13], v[20:21], -v[12:13]
	v_fma_f64 v[16:17], v[48:49], s[12:13], v[16:17]
	v_fma_f64 v[16:17], v[30:31], s[14:15], v[16:17]
	v_mul_f64 v[20:21], v[16:17], s[20:21]
	v_mul_f64 v[16:17], v[16:17], s[14:15]
	v_fma_f64 v[20:21], v[18:19], s[14:15], v[20:21]
	v_fma_f64 v[22:23], v[18:19], s[18:19], v[16:17]
	;; [unrolled: 1-line block ×14, first 2 shown]
	v_add_f64 v[16:17], v[52:53], v[20:21]
	v_add_f64 v[20:21], v[52:53], -v[20:21]
	v_fma_f64 v[24:25], v[38:39], s[16:17], v[24:25]
	v_fma_f64 v[38:39], v[38:39], s[20:21], v[87:88]
	v_add_f64 v[18:19], v[54:55], v[22:23]
	v_add_f64 v[22:23], v[54:55], -v[22:23]
	v_fma_f64 v[46:47], v[26:27], s[14:15], v[24:25]
	v_fma_f64 v[24:25], v[56:57], s[18:19], v[42:43]
	;; [unrolled: 1-line block ×16, first 2 shown]
	v_mul_f64 v[28:29], v[24:25], s[20:21]
	v_mul_f64 v[24:25], v[24:25], s[24:25]
	;; [unrolled: 1-line block ×4, first 2 shown]
	v_fma_f64 v[28:29], v[26:27], s[24:25], v[28:29]
	v_fma_f64 v[30:31], v[26:27], s[18:19], v[24:25]
	;; [unrolled: 1-line block ×3, first 2 shown]
	v_add_f64 v[24:25], v[44:45], v[28:29]
	v_add_f64 v[28:29], v[44:45], -v[28:29]
	v_fma_f64 v[44:45], v[32:33], s[12:13], v[36:37]
	v_add_f64 v[32:33], v[40:41], v[38:39]
	v_add_f64 v[36:37], v[40:41], -v[38:39]
	buffer_load_dword v40, off, s[36:39], 0 offset:1244 ; 4-byte Folded Reload
	v_add_f64 v[26:27], v[46:47], v[30:31]
	v_add_f64 v[30:31], v[46:47], -v[30:31]
	v_add_f64 v[34:35], v[42:43], v[44:45]
	v_add_f64 v[38:39], v[42:43], -v[44:45]
	s_waitcnt vmcnt(0)
	ds_write_b128 v40, v[0:3]
	ds_write_b128 v40, v[8:11] offset:16
	ds_write_b128 v40, v[16:19] offset:32
	;; [unrolled: 1-line block ×9, first 2 shown]
	s_waitcnt lgkmcnt(0)
	s_barrier
	buffer_gl0_inv
	ds_read_b128 v[2:5], v86 offset:12960
	s_clause 0x3
	buffer_load_dword v6, off, s[36:39], 0 offset:1212
	buffer_load_dword v7, off, s[36:39], 0 offset:1216
	buffer_load_dword v8, off, s[36:39], 0 offset:1220
	buffer_load_dword v9, off, s[36:39], 0 offset:1224
	s_waitcnt vmcnt(0) lgkmcnt(0)
	v_mul_f64 v[0:1], v[8:9], v[4:5]
	v_fma_f64 v[0:1], v[6:7], v[2:3], v[0:1]
	v_mul_f64 v[2:3], v[8:9], v[2:3]
	v_fma_f64 v[2:3], v[6:7], v[4:5], -v[2:3]
	ds_read_b128 v[6:9], v86 offset:25920
	s_clause 0x3
	buffer_load_dword v10, off, s[36:39], 0 offset:1228
	buffer_load_dword v11, off, s[36:39], 0 offset:1232
	buffer_load_dword v12, off, s[36:39], 0 offset:1236
	buffer_load_dword v13, off, s[36:39], 0 offset:1240
	s_waitcnt vmcnt(0) lgkmcnt(0)
	v_mul_f64 v[4:5], v[12:13], v[8:9]
	v_fma_f64 v[4:5], v[10:11], v[6:7], v[4:5]
	v_mul_f64 v[6:7], v[12:13], v[6:7]
	v_fma_f64 v[6:7], v[10:11], v[8:9], -v[6:7]
	ds_read_b128 v[8:11], v86 offset:14256
	s_clause 0x3
	buffer_load_dword v14, off, s[36:39], 0 offset:1196
	buffer_load_dword v15, off, s[36:39], 0 offset:1200
	buffer_load_dword v16, off, s[36:39], 0 offset:1204
	buffer_load_dword v17, off, s[36:39], 0 offset:1208
	s_waitcnt vmcnt(0) lgkmcnt(0)
	v_mul_f64 v[12:13], v[16:17], v[10:11]
	v_fma_f64 v[88:89], v[14:15], v[8:9], v[12:13]
	v_mul_f64 v[8:9], v[16:17], v[8:9]
	v_fma_f64 v[90:91], v[14:15], v[10:11], -v[8:9]
	ds_read_b128 v[8:11], v86 offset:27216
	s_clause 0x3
	buffer_load_dword v14, off, s[36:39], 0 offset:1132
	buffer_load_dword v15, off, s[36:39], 0 offset:1136
	buffer_load_dword v16, off, s[36:39], 0 offset:1140
	buffer_load_dword v17, off, s[36:39], 0 offset:1144
	s_waitcnt vmcnt(0) lgkmcnt(0)
	v_mul_f64 v[12:13], v[16:17], v[10:11]
	v_fma_f64 v[92:93], v[14:15], v[8:9], v[12:13]
	v_mul_f64 v[8:9], v[16:17], v[8:9]
	v_fma_f64 v[94:95], v[14:15], v[10:11], -v[8:9]
	ds_read_b128 v[8:11], v86 offset:15552
	s_clause 0x3
	buffer_load_dword v14, off, s[36:39], 0 offset:1164
	buffer_load_dword v15, off, s[36:39], 0 offset:1168
	buffer_load_dword v16, off, s[36:39], 0 offset:1172
	buffer_load_dword v17, off, s[36:39], 0 offset:1176
	s_waitcnt vmcnt(0) lgkmcnt(0)
	v_mul_f64 v[12:13], v[16:17], v[10:11]
	v_fma_f64 v[76:77], v[14:15], v[8:9], v[12:13]
	v_mul_f64 v[8:9], v[16:17], v[8:9]
	v_fma_f64 v[80:81], v[14:15], v[10:11], -v[8:9]
	ds_read_b128 v[8:11], v86 offset:28512
	s_clause 0x3
	buffer_load_dword v14, off, s[36:39], 0 offset:1180
	buffer_load_dword v15, off, s[36:39], 0 offset:1184
	buffer_load_dword v16, off, s[36:39], 0 offset:1188
	buffer_load_dword v17, off, s[36:39], 0 offset:1192
	s_waitcnt vmcnt(0) lgkmcnt(0)
	v_mul_f64 v[12:13], v[16:17], v[10:11]
	v_fma_f64 v[82:83], v[14:15], v[8:9], v[12:13]
	v_mul_f64 v[8:9], v[16:17], v[8:9]
	v_fma_f64 v[96:97], v[14:15], v[10:11], -v[8:9]
	ds_read_b128 v[8:11], v86 offset:16848
	s_clause 0x3
	buffer_load_dword v14, off, s[36:39], 0 offset:1148
	buffer_load_dword v15, off, s[36:39], 0 offset:1152
	buffer_load_dword v16, off, s[36:39], 0 offset:1156
	buffer_load_dword v17, off, s[36:39], 0 offset:1160
	s_waitcnt vmcnt(0) lgkmcnt(0)
	v_mul_f64 v[12:13], v[16:17], v[10:11]
	v_fma_f64 v[72:73], v[14:15], v[8:9], v[12:13]
	v_mul_f64 v[8:9], v[16:17], v[8:9]
	v_fma_f64 v[74:75], v[14:15], v[10:11], -v[8:9]
	ds_read_b128 v[8:11], v86 offset:29808
	s_clause 0x3
	buffer_load_dword v14, off, s[36:39], 0 offset:1068
	buffer_load_dword v15, off, s[36:39], 0 offset:1072
	buffer_load_dword v16, off, s[36:39], 0 offset:1076
	buffer_load_dword v17, off, s[36:39], 0 offset:1080
	s_waitcnt vmcnt(0) lgkmcnt(0)
	v_mul_f64 v[12:13], v[16:17], v[10:11]
	v_fma_f64 v[78:79], v[14:15], v[8:9], v[12:13]
	v_mul_f64 v[8:9], v[16:17], v[8:9]
	v_fma_f64 v[84:85], v[14:15], v[10:11], -v[8:9]
	ds_read_b128 v[8:11], v86 offset:18144
	s_clause 0x3
	buffer_load_dword v14, off, s[36:39], 0 offset:1100
	buffer_load_dword v15, off, s[36:39], 0 offset:1104
	buffer_load_dword v16, off, s[36:39], 0 offset:1108
	buffer_load_dword v17, off, s[36:39], 0 offset:1112
	s_waitcnt vmcnt(0) lgkmcnt(0)
	v_mul_f64 v[12:13], v[16:17], v[10:11]
	v_fma_f64 v[60:61], v[14:15], v[8:9], v[12:13]
	v_mul_f64 v[8:9], v[16:17], v[8:9]
	v_fma_f64 v[64:65], v[14:15], v[10:11], -v[8:9]
	ds_read_b128 v[8:11], v86 offset:31104
	s_clause 0x3
	buffer_load_dword v14, off, s[36:39], 0 offset:1116
	buffer_load_dword v15, off, s[36:39], 0 offset:1120
	buffer_load_dword v16, off, s[36:39], 0 offset:1124
	buffer_load_dword v17, off, s[36:39], 0 offset:1128
	s_waitcnt vmcnt(0) lgkmcnt(0)
	v_mul_f64 v[12:13], v[16:17], v[10:11]
	v_fma_f64 v[66:67], v[14:15], v[8:9], v[12:13]
	v_mul_f64 v[8:9], v[16:17], v[8:9]
	v_fma_f64 v[70:71], v[14:15], v[10:11], -v[8:9]
	ds_read_b128 v[8:11], v86 offset:19440
	s_clause 0x3
	buffer_load_dword v14, off, s[36:39], 0 offset:1084
	buffer_load_dword v15, off, s[36:39], 0 offset:1088
	buffer_load_dword v16, off, s[36:39], 0 offset:1092
	buffer_load_dword v17, off, s[36:39], 0 offset:1096
	s_waitcnt vmcnt(0) lgkmcnt(0)
	v_mul_f64 v[12:13], v[16:17], v[10:11]
	v_fma_f64 v[56:57], v[14:15], v[8:9], v[12:13]
	v_mul_f64 v[8:9], v[16:17], v[8:9]
	v_fma_f64 v[58:59], v[14:15], v[10:11], -v[8:9]
	ds_read_b128 v[8:11], v86 offset:32400
	s_clause 0x3
	buffer_load_dword v14, off, s[36:39], 0 offset:1004
	buffer_load_dword v15, off, s[36:39], 0 offset:1008
	buffer_load_dword v16, off, s[36:39], 0 offset:1012
	buffer_load_dword v17, off, s[36:39], 0 offset:1016
	s_waitcnt vmcnt(0) lgkmcnt(0)
	v_mul_f64 v[12:13], v[16:17], v[10:11]
	v_fma_f64 v[62:63], v[14:15], v[8:9], v[12:13]
	v_mul_f64 v[8:9], v[16:17], v[8:9]
	v_fma_f64 v[68:69], v[14:15], v[10:11], -v[8:9]
	ds_read_b128 v[8:11], v86 offset:20736
	s_clause 0x3
	buffer_load_dword v14, off, s[36:39], 0 offset:1036
	buffer_load_dword v15, off, s[36:39], 0 offset:1040
	buffer_load_dword v16, off, s[36:39], 0 offset:1044
	buffer_load_dword v17, off, s[36:39], 0 offset:1048
	s_waitcnt vmcnt(0) lgkmcnt(0)
	v_mul_f64 v[12:13], v[16:17], v[10:11]
	v_fma_f64 v[44:45], v[14:15], v[8:9], v[12:13]
	v_mul_f64 v[8:9], v[16:17], v[8:9]
	v_fma_f64 v[48:49], v[14:15], v[10:11], -v[8:9]
	ds_read_b128 v[8:11], v86 offset:33696
	s_clause 0x3
	buffer_load_dword v14, off, s[36:39], 0 offset:1052
	buffer_load_dword v15, off, s[36:39], 0 offset:1056
	buffer_load_dword v16, off, s[36:39], 0 offset:1060
	buffer_load_dword v17, off, s[36:39], 0 offset:1064
	s_waitcnt vmcnt(0) lgkmcnt(0)
	v_mul_f64 v[12:13], v[16:17], v[10:11]
	v_fma_f64 v[50:51], v[14:15], v[8:9], v[12:13]
	v_mul_f64 v[8:9], v[16:17], v[8:9]
	v_fma_f64 v[54:55], v[14:15], v[10:11], -v[8:9]
	ds_read_b128 v[8:11], v86 offset:22032
	s_clause 0x3
	buffer_load_dword v14, off, s[36:39], 0 offset:1020
	buffer_load_dword v15, off, s[36:39], 0 offset:1024
	buffer_load_dword v16, off, s[36:39], 0 offset:1028
	buffer_load_dword v17, off, s[36:39], 0 offset:1032
	s_waitcnt vmcnt(0) lgkmcnt(0)
	v_mul_f64 v[12:13], v[16:17], v[10:11]
	v_fma_f64 v[40:41], v[14:15], v[8:9], v[12:13]
	v_mul_f64 v[8:9], v[16:17], v[8:9]
	v_fma_f64 v[42:43], v[14:15], v[10:11], -v[8:9]
	ds_read_b128 v[8:11], v86 offset:34992
	s_clause 0x3
	buffer_load_dword v14, off, s[36:39], 0 offset:940
	buffer_load_dword v15, off, s[36:39], 0 offset:944
	buffer_load_dword v16, off, s[36:39], 0 offset:948
	buffer_load_dword v17, off, s[36:39], 0 offset:952
	s_waitcnt vmcnt(0) lgkmcnt(0)
	v_mul_f64 v[12:13], v[16:17], v[10:11]
	v_fma_f64 v[46:47], v[14:15], v[8:9], v[12:13]
	v_mul_f64 v[8:9], v[16:17], v[8:9]
	v_fma_f64 v[52:53], v[14:15], v[10:11], -v[8:9]
	ds_read_b128 v[8:11], v86 offset:23328
	s_clause 0x3
	buffer_load_dword v14, off, s[36:39], 0 offset:972
	buffer_load_dword v15, off, s[36:39], 0 offset:976
	buffer_load_dword v16, off, s[36:39], 0 offset:980
	buffer_load_dword v17, off, s[36:39], 0 offset:984
	s_waitcnt vmcnt(0) lgkmcnt(0)
	v_mul_f64 v[12:13], v[16:17], v[10:11]
	v_fma_f64 v[28:29], v[14:15], v[8:9], v[12:13]
	v_mul_f64 v[8:9], v[16:17], v[8:9]
	v_fma_f64 v[32:33], v[14:15], v[10:11], -v[8:9]
	ds_read_b128 v[8:11], v86 offset:36288
	s_clause 0x3
	buffer_load_dword v14, off, s[36:39], 0 offset:988
	buffer_load_dword v15, off, s[36:39], 0 offset:992
	buffer_load_dword v16, off, s[36:39], 0 offset:996
	buffer_load_dword v17, off, s[36:39], 0 offset:1000
	s_waitcnt vmcnt(0) lgkmcnt(0)
	v_mul_f64 v[12:13], v[16:17], v[10:11]
	v_fma_f64 v[34:35], v[14:15], v[8:9], v[12:13]
	v_mul_f64 v[8:9], v[16:17], v[8:9]
	v_fma_f64 v[38:39], v[14:15], v[10:11], -v[8:9]
	ds_read_b128 v[8:11], v86 offset:24624
	s_clause 0x3
	buffer_load_dword v14, off, s[36:39], 0 offset:956
	buffer_load_dword v15, off, s[36:39], 0 offset:960
	buffer_load_dword v16, off, s[36:39], 0 offset:964
	buffer_load_dword v17, off, s[36:39], 0 offset:968
	s_waitcnt vmcnt(0) lgkmcnt(0)
	v_mul_f64 v[12:13], v[16:17], v[10:11]
	v_fma_f64 v[24:25], v[14:15], v[8:9], v[12:13]
	v_mul_f64 v[8:9], v[16:17], v[8:9]
	v_fma_f64 v[26:27], v[14:15], v[10:11], -v[8:9]
	ds_read_b128 v[8:11], v86 offset:37584
	s_clause 0x3
	buffer_load_dword v14, off, s[36:39], 0 offset:924
	buffer_load_dword v15, off, s[36:39], 0 offset:928
	;; [unrolled: 1-line block ×4, first 2 shown]
	s_waitcnt vmcnt(0) lgkmcnt(0)
	v_mul_f64 v[12:13], v[16:17], v[10:11]
	v_fma_f64 v[30:31], v[14:15], v[8:9], v[12:13]
	v_mul_f64 v[8:9], v[16:17], v[8:9]
	v_add_f64 v[12:13], v[0:1], v[4:5]
	v_fma_f64 v[36:37], v[14:15], v[10:11], -v[8:9]
	v_add_f64 v[14:15], v[2:3], v[6:7]
	ds_read_b128 v[8:11], v86
	s_waitcnt lgkmcnt(0)
	v_fma_f64 v[12:13], v[12:13], -0.5, v[8:9]
	v_fma_f64 v[14:15], v[14:15], -0.5, v[10:11]
	v_add_f64 v[10:11], v[10:11], v[2:3]
	v_add_f64 v[8:9], v[8:9], v[0:1]
	v_add_f64 v[2:3], v[2:3], -v[6:7]
	v_add_f64 v[0:1], v[0:1], -v[4:5]
	v_add_f64 v[100:101], v[10:11], v[6:7]
	v_add_f64 v[98:99], v[8:9], v[4:5]
	v_fma_f64 v[102:103], v[2:3], s[6:7], v[12:13]
	v_fma_f64 v[106:107], v[2:3], s[8:9], v[12:13]
	;; [unrolled: 1-line block ×4, first 2 shown]
	ds_read_b128 v[110:113], v86 offset:1296
	ds_read_b128 v[114:117], v86 offset:2592
	;; [unrolled: 1-line block ×9, first 2 shown]
	s_waitcnt lgkmcnt(0)
	s_barrier
	buffer_gl0_inv
	buffer_load_dword v87, off, s[36:39], 0 offset:920 ; 4-byte Folded Reload
	s_waitcnt vmcnt(0)
	ds_write_b128 v87, v[98:101]
	ds_write_b128 v87, v[102:105] offset:160
	ds_write_b128 v87, v[106:109] offset:320
	v_add_f64 v[98:99], v[88:89], v[92:93]
	v_add_f64 v[106:107], v[110:111], v[88:89]
	v_fma_f64 v[102:103], v[98:99], -0.5, v[110:111]
	v_add_f64 v[98:99], v[90:91], v[94:95]
	v_fma_f64 v[104:105], v[98:99], -0.5, v[112:113]
	v_add_f64 v[98:99], v[112:113], v[90:91]
	v_add_f64 v[90:91], v[90:91], -v[94:95]
	v_add_f64 v[100:101], v[98:99], v[94:95]
	buffer_load_dword v95, off, s[36:39], 0 offset:916 ; 4-byte Folded Reload
	v_add_f64 v[98:99], v[106:107], v[92:93]
	v_add_f64 v[93:94], v[88:89], -v[92:93]
	v_fma_f64 v[87:88], v[90:91], s[6:7], v[102:103]
	v_fma_f64 v[91:92], v[90:91], s[8:9], v[102:103]
	;; [unrolled: 1-line block ×4, first 2 shown]
	s_waitcnt vmcnt(0)
	ds_write_b128 v95, v[98:101]
	ds_write_b128 v95, v[87:90] offset:160
	ds_write_b128 v95, v[91:94] offset:320
	v_add_f64 v[87:88], v[76:77], v[82:83]
	v_add_f64 v[98:99], v[114:115], v[76:77]
	v_add_f64 v[76:77], v[76:77], -v[82:83]
	v_add_f64 v[100:101], v[80:81], -v[96:97]
	v_fma_f64 v[91:92], v[87:88], -0.5, v[114:115]
	v_add_f64 v[87:88], v[80:81], v[96:97]
	v_fma_f64 v[93:94], v[87:88], -0.5, v[116:117]
	v_add_f64 v[87:88], v[116:117], v[80:81]
	v_fma_f64 v[80:81], v[100:101], s[6:7], v[91:92]
	v_fma_f64 v[91:92], v[100:101], s[8:9], v[91:92]
	v_add_f64 v[89:90], v[87:88], v[96:97]
	v_add_f64 v[87:88], v[98:99], v[82:83]
	v_fma_f64 v[82:83], v[76:77], s[8:9], v[93:94]
	v_fma_f64 v[93:94], v[76:77], s[6:7], v[93:94]
	buffer_load_dword v76, off, s[36:39], 0 offset:912 ; 4-byte Folded Reload
	s_waitcnt vmcnt(0)
	ds_write_b128 v76, v[87:90]
	ds_write_b128 v76, v[80:83] offset:160
	ds_write_b128 v76, v[91:94] offset:320
	v_add_f64 v[76:77], v[72:73], v[78:79]
	v_add_f64 v[82:83], v[118:119], v[72:73]
	v_add_f64 v[89:90], v[74:75], -v[84:85]
	v_add_f64 v[72:73], v[72:73], -v[78:79]
	v_fma_f64 v[80:81], v[76:77], -0.5, v[118:119]
	v_add_f64 v[76:77], v[74:75], v[84:85]
	v_fma_f64 v[87:88], v[76:77], -0.5, v[120:121]
	v_add_f64 v[76:77], v[120:121], v[74:75]
	v_add_f64 v[74:75], v[82:83], v[78:79]
	v_fma_f64 v[78:79], v[89:90], s[6:7], v[80:81]
	v_fma_f64 v[82:83], v[89:90], s[8:9], v[80:81]
	;; [unrolled: 1-line block ×3, first 2 shown]
	v_add_f64 v[76:77], v[76:77], v[84:85]
	v_fma_f64 v[84:85], v[72:73], s[6:7], v[87:88]
	buffer_load_dword v72, off, s[36:39], 0 offset:908 ; 4-byte Folded Reload
	s_waitcnt vmcnt(0)
	ds_write_b128 v72, v[74:77]
	ds_write_b128 v72, v[78:81] offset:160
	ds_write_b128 v72, v[82:85] offset:320
	v_add_f64 v[72:73], v[60:61], v[66:67]
	v_add_f64 v[74:75], v[64:65], v[70:71]
	v_add_f64 v[76:77], v[64:65], -v[70:71]
	v_fma_f64 v[72:73], v[72:73], -0.5, v[20:21]
	v_fma_f64 v[74:75], v[74:75], -0.5, v[22:23]
	v_add_f64 v[22:23], v[22:23], v[64:65]
	v_add_f64 v[20:21], v[20:21], v[60:61]
	v_add_f64 v[60:61], v[60:61], -v[66:67]
	v_fma_f64 v[64:65], v[76:77], s[6:7], v[72:73]
	v_add_f64 v[22:23], v[22:23], v[70:71]
	v_add_f64 v[20:21], v[20:21], v[66:67]
	v_fma_f64 v[70:71], v[76:77], s[8:9], v[72:73]
	v_fma_f64 v[66:67], v[60:61], s[8:9], v[74:75]
	;; [unrolled: 1-line block ×3, first 2 shown]
	buffer_load_dword v60, off, s[36:39], 0 offset:904 ; 4-byte Folded Reload
	s_waitcnt vmcnt(0)
	ds_write_b128 v60, v[20:23]
	ds_write_b128 v60, v[64:67] offset:160
	ds_write_b128 v60, v[70:73] offset:320
	v_add_f64 v[20:21], v[56:57], v[62:63]
	v_fma_f64 v[22:23], v[20:21], -0.5, v[16:17]
	v_add_f64 v[20:21], v[58:59], v[68:69]
	v_add_f64 v[16:17], v[16:17], v[56:57]
	v_fma_f64 v[60:61], v[20:21], -0.5, v[18:19]
	v_add_f64 v[18:19], v[18:19], v[58:59]
	v_add_f64 v[58:59], v[58:59], -v[68:69]
	v_add_f64 v[16:17], v[16:17], v[62:63]
	v_add_f64 v[62:63], v[56:57], -v[62:63]
	v_add_f64 v[18:19], v[18:19], v[68:69]
	v_fma_f64 v[20:21], v[58:59], s[6:7], v[22:23]
	v_fma_f64 v[56:57], v[58:59], s[8:9], v[22:23]
	;; [unrolled: 1-line block ×4, first 2 shown]
	buffer_load_dword v60, off, s[36:39], 0 offset:900 ; 4-byte Folded Reload
	s_waitcnt vmcnt(0)
	ds_write_b128 v60, v[16:19]
	ds_write_b128 v60, v[20:23] offset:160
	ds_write_b128 v60, v[56:59] offset:320
	v_add_f64 v[16:17], v[44:45], v[50:51]
	v_add_f64 v[20:21], v[48:49], -v[54:55]
	v_fma_f64 v[18:19], v[16:17], -0.5, v[12:13]
	v_add_f64 v[16:17], v[48:49], v[54:55]
	v_add_f64 v[12:13], v[12:13], v[44:45]
	v_add_f64 v[44:45], v[44:45], -v[50:51]
	v_fma_f64 v[22:23], v[16:17], -0.5, v[14:15]
	v_fma_f64 v[16:17], v[20:21], s[6:7], v[18:19]
	v_fma_f64 v[20:21], v[20:21], s[8:9], v[18:19]
	v_add_f64 v[14:15], v[14:15], v[48:49]
	v_add_f64 v[12:13], v[12:13], v[50:51]
	v_fma_f64 v[18:19], v[44:45], s[8:9], v[22:23]
	v_fma_f64 v[22:23], v[44:45], s[6:7], v[22:23]
	buffer_load_dword v44, off, s[36:39], 0 offset:896 ; 4-byte Folded Reload
	v_add_f64 v[14:15], v[14:15], v[54:55]
	s_waitcnt vmcnt(0)
	ds_write_b128 v44, v[12:15]
	ds_write_b128 v44, v[16:19] offset:160
	ds_write_b128 v44, v[20:23] offset:320
	v_add_f64 v[12:13], v[40:41], v[46:47]
	v_add_f64 v[16:17], v[42:43], -v[52:53]
	v_add_f64 v[20:21], v[40:41], -v[46:47]
	v_fma_f64 v[14:15], v[12:13], -0.5, v[8:9]
	v_add_f64 v[12:13], v[42:43], v[52:53]
	v_add_f64 v[8:9], v[8:9], v[40:41]
	v_fma_f64 v[18:19], v[12:13], -0.5, v[10:11]
	v_fma_f64 v[12:13], v[16:17], s[6:7], v[14:15]
	v_fma_f64 v[16:17], v[16:17], s[8:9], v[14:15]
	v_add_f64 v[10:11], v[10:11], v[42:43]
	v_add_f64 v[8:9], v[8:9], v[46:47]
	v_fma_f64 v[14:15], v[20:21], s[8:9], v[18:19]
	v_fma_f64 v[18:19], v[20:21], s[6:7], v[18:19]
	buffer_load_dword v20, off, s[36:39], 0 offset:892 ; 4-byte Folded Reload
	v_add_f64 v[10:11], v[10:11], v[52:53]
	s_waitcnt vmcnt(0)
	ds_write_b128 v20, v[8:11]
	ds_write_b128 v20, v[12:15] offset:160
	ds_write_b128 v20, v[16:19] offset:320
	v_add_f64 v[8:9], v[28:29], v[34:35]
	v_add_f64 v[12:13], v[32:33], -v[38:39]
	v_add_f64 v[16:17], v[28:29], -v[34:35]
	v_fma_f64 v[10:11], v[8:9], -0.5, v[4:5]
	v_add_f64 v[8:9], v[32:33], v[38:39]
	v_add_f64 v[4:5], v[4:5], v[28:29]
	;; [unrolled: 19-line block ×3, first 2 shown]
	v_fma_f64 v[10:11], v[4:5], -0.5, v[2:3]
	v_fma_f64 v[4:5], v[8:9], s[6:7], v[6:7]
	v_fma_f64 v[8:9], v[8:9], s[8:9], v[6:7]
	v_add_f64 v[2:3], v[2:3], v[26:27]
	v_add_f64 v[0:1], v[0:1], v[30:31]
	v_fma_f64 v[6:7], v[12:13], s[8:9], v[10:11]
	v_fma_f64 v[10:11], v[12:13], s[6:7], v[10:11]
	buffer_load_dword v12, off, s[36:39], 0 offset:884 ; 4-byte Folded Reload
	v_add_f64 v[2:3], v[2:3], v[36:37]
	s_waitcnt vmcnt(0)
	ds_write_b128 v12, v[0:3]
	ds_write_b128 v12, v[4:7] offset:160
	ds_write_b128 v12, v[8:11] offset:320
	s_waitcnt lgkmcnt(0)
	s_barrier
	buffer_gl0_inv
	ds_read_b128 v[2:5], v86 offset:12960
	s_clause 0x3
	buffer_load_dword v6, off, s[36:39], 0 offset:852
	buffer_load_dword v7, off, s[36:39], 0 offset:856
	buffer_load_dword v8, off, s[36:39], 0 offset:860
	buffer_load_dword v9, off, s[36:39], 0 offset:864
	s_waitcnt vmcnt(0) lgkmcnt(0)
	v_mul_f64 v[0:1], v[8:9], v[4:5]
	v_fma_f64 v[0:1], v[6:7], v[2:3], v[0:1]
	v_mul_f64 v[2:3], v[8:9], v[2:3]
	v_fma_f64 v[2:3], v[6:7], v[4:5], -v[2:3]
	ds_read_b128 v[6:9], v86 offset:25920
	s_clause 0x3
	buffer_load_dword v10, off, s[36:39], 0 offset:868
	buffer_load_dword v11, off, s[36:39], 0 offset:872
	buffer_load_dword v12, off, s[36:39], 0 offset:876
	buffer_load_dword v13, off, s[36:39], 0 offset:880
	s_waitcnt vmcnt(0) lgkmcnt(0)
	v_mul_f64 v[4:5], v[12:13], v[8:9]
	v_fma_f64 v[4:5], v[10:11], v[6:7], v[4:5]
	v_mul_f64 v[6:7], v[12:13], v[6:7]
	v_fma_f64 v[6:7], v[10:11], v[8:9], -v[6:7]
	;; [unrolled: 11-line block ×19, first 2 shown]
	ds_read_b128 v[8:11], v86 offset:37584
	s_clause 0x3
	buffer_load_dword v14, off, s[36:39], 0 offset:564
	buffer_load_dword v15, off, s[36:39], 0 offset:568
	;; [unrolled: 1-line block ×4, first 2 shown]
	s_waitcnt vmcnt(0) lgkmcnt(0)
	v_mul_f64 v[12:13], v[16:17], v[10:11]
	v_fma_f64 v[30:31], v[14:15], v[8:9], v[12:13]
	v_mul_f64 v[8:9], v[16:17], v[8:9]
	v_add_f64 v[12:13], v[0:1], v[4:5]
	v_fma_f64 v[36:37], v[14:15], v[10:11], -v[8:9]
	v_add_f64 v[14:15], v[2:3], v[6:7]
	ds_read_b128 v[8:11], v86
	s_waitcnt lgkmcnt(0)
	v_fma_f64 v[12:13], v[12:13], -0.5, v[8:9]
	v_fma_f64 v[14:15], v[14:15], -0.5, v[10:11]
	v_add_f64 v[10:11], v[10:11], v[2:3]
	v_add_f64 v[8:9], v[8:9], v[0:1]
	v_add_f64 v[2:3], v[2:3], -v[6:7]
	v_add_f64 v[0:1], v[0:1], -v[4:5]
	v_add_f64 v[100:101], v[10:11], v[6:7]
	v_add_f64 v[98:99], v[8:9], v[4:5]
	v_fma_f64 v[102:103], v[2:3], s[6:7], v[12:13]
	v_fma_f64 v[106:107], v[2:3], s[8:9], v[12:13]
	;; [unrolled: 1-line block ×4, first 2 shown]
	ds_read_b128 v[110:113], v86 offset:1296
	ds_read_b128 v[114:117], v86 offset:2592
	ds_read_b128 v[118:121], v86 offset:3888
	ds_read_b128 v[20:23], v86 offset:5184
	ds_read_b128 v[16:19], v86 offset:6480
	ds_read_b128 v[12:15], v86 offset:7776
	ds_read_b128 v[8:11], v86 offset:9072
	ds_read_b128 v[4:7], v86 offset:10368
	ds_read_b128 v[0:3], v86 offset:11664
	s_waitcnt lgkmcnt(0)
	s_barrier
	buffer_gl0_inv
	buffer_load_dword v87, off, s[36:39], 0 offset:560 ; 4-byte Folded Reload
	s_waitcnt vmcnt(0)
	ds_write_b128 v87, v[98:101]
	ds_write_b128 v87, v[102:105] offset:480
	ds_write_b128 v87, v[106:109] offset:960
	v_add_f64 v[98:99], v[88:89], v[92:93]
	v_add_f64 v[106:107], v[110:111], v[88:89]
	v_fma_f64 v[102:103], v[98:99], -0.5, v[110:111]
	v_add_f64 v[98:99], v[90:91], v[94:95]
	v_fma_f64 v[104:105], v[98:99], -0.5, v[112:113]
	v_add_f64 v[98:99], v[112:113], v[90:91]
	v_add_f64 v[90:91], v[90:91], -v[94:95]
	v_add_f64 v[100:101], v[98:99], v[94:95]
	buffer_load_dword v95, off, s[36:39], 0 offset:556 ; 4-byte Folded Reload
	v_add_f64 v[98:99], v[106:107], v[92:93]
	v_add_f64 v[93:94], v[88:89], -v[92:93]
	v_fma_f64 v[87:88], v[90:91], s[6:7], v[102:103]
	v_fma_f64 v[91:92], v[90:91], s[8:9], v[102:103]
	;; [unrolled: 1-line block ×4, first 2 shown]
	s_waitcnt vmcnt(0)
	ds_write_b128 v95, v[98:101]
	ds_write_b128 v95, v[87:90] offset:480
	ds_write_b128 v95, v[91:94] offset:960
	v_add_f64 v[87:88], v[76:77], v[82:83]
	v_add_f64 v[98:99], v[114:115], v[76:77]
	v_add_f64 v[76:77], v[76:77], -v[82:83]
	v_add_f64 v[100:101], v[80:81], -v[96:97]
	v_fma_f64 v[91:92], v[87:88], -0.5, v[114:115]
	v_add_f64 v[87:88], v[80:81], v[96:97]
	v_fma_f64 v[93:94], v[87:88], -0.5, v[116:117]
	v_add_f64 v[87:88], v[116:117], v[80:81]
	v_fma_f64 v[80:81], v[100:101], s[6:7], v[91:92]
	v_fma_f64 v[91:92], v[100:101], s[8:9], v[91:92]
	v_add_f64 v[89:90], v[87:88], v[96:97]
	v_add_f64 v[87:88], v[98:99], v[82:83]
	v_fma_f64 v[82:83], v[76:77], s[8:9], v[93:94]
	v_fma_f64 v[93:94], v[76:77], s[6:7], v[93:94]
	buffer_load_dword v76, off, s[36:39], 0 offset:552 ; 4-byte Folded Reload
	s_waitcnt vmcnt(0)
	ds_write_b128 v76, v[87:90]
	ds_write_b128 v76, v[80:83] offset:480
	ds_write_b128 v76, v[91:94] offset:960
	v_add_f64 v[76:77], v[72:73], v[78:79]
	v_add_f64 v[82:83], v[118:119], v[72:73]
	v_add_f64 v[89:90], v[74:75], -v[84:85]
	v_add_f64 v[72:73], v[72:73], -v[78:79]
	v_fma_f64 v[80:81], v[76:77], -0.5, v[118:119]
	v_add_f64 v[76:77], v[74:75], v[84:85]
	v_fma_f64 v[87:88], v[76:77], -0.5, v[120:121]
	v_add_f64 v[76:77], v[120:121], v[74:75]
	v_add_f64 v[74:75], v[82:83], v[78:79]
	v_fma_f64 v[78:79], v[89:90], s[6:7], v[80:81]
	v_fma_f64 v[82:83], v[89:90], s[8:9], v[80:81]
	;; [unrolled: 1-line block ×3, first 2 shown]
	v_add_f64 v[76:77], v[76:77], v[84:85]
	v_fma_f64 v[84:85], v[72:73], s[6:7], v[87:88]
	buffer_load_dword v72, off, s[36:39], 0 offset:548 ; 4-byte Folded Reload
	s_waitcnt vmcnt(0)
	ds_write_b128 v72, v[74:77]
	ds_write_b128 v72, v[78:81] offset:480
	ds_write_b128 v72, v[82:85] offset:960
	v_add_f64 v[72:73], v[60:61], v[66:67]
	v_add_f64 v[74:75], v[64:65], v[70:71]
	v_add_f64 v[76:77], v[64:65], -v[70:71]
	v_fma_f64 v[72:73], v[72:73], -0.5, v[20:21]
	v_fma_f64 v[74:75], v[74:75], -0.5, v[22:23]
	v_add_f64 v[22:23], v[22:23], v[64:65]
	v_add_f64 v[20:21], v[20:21], v[60:61]
	v_add_f64 v[60:61], v[60:61], -v[66:67]
	v_fma_f64 v[64:65], v[76:77], s[6:7], v[72:73]
	v_add_f64 v[22:23], v[22:23], v[70:71]
	v_add_f64 v[20:21], v[20:21], v[66:67]
	v_fma_f64 v[70:71], v[76:77], s[8:9], v[72:73]
	v_fma_f64 v[66:67], v[60:61], s[8:9], v[74:75]
	;; [unrolled: 1-line block ×3, first 2 shown]
	buffer_load_dword v60, off, s[36:39], 0 offset:544 ; 4-byte Folded Reload
	s_waitcnt vmcnt(0)
	ds_write_b128 v60, v[20:23]
	ds_write_b128 v60, v[64:67] offset:480
	ds_write_b128 v60, v[70:73] offset:960
	v_add_f64 v[20:21], v[56:57], v[62:63]
	v_fma_f64 v[22:23], v[20:21], -0.5, v[16:17]
	v_add_f64 v[20:21], v[58:59], v[68:69]
	v_add_f64 v[16:17], v[16:17], v[56:57]
	v_fma_f64 v[60:61], v[20:21], -0.5, v[18:19]
	v_add_f64 v[18:19], v[18:19], v[58:59]
	v_add_f64 v[58:59], v[58:59], -v[68:69]
	v_add_f64 v[16:17], v[16:17], v[62:63]
	v_add_f64 v[62:63], v[56:57], -v[62:63]
	v_add_f64 v[18:19], v[18:19], v[68:69]
	v_fma_f64 v[20:21], v[58:59], s[6:7], v[22:23]
	v_fma_f64 v[56:57], v[58:59], s[8:9], v[22:23]
	;; [unrolled: 1-line block ×4, first 2 shown]
	buffer_load_dword v60, off, s[36:39], 0 offset:540 ; 4-byte Folded Reload
	s_waitcnt vmcnt(0)
	ds_write_b128 v60, v[16:19]
	ds_write_b128 v60, v[20:23] offset:480
	ds_write_b128 v60, v[56:59] offset:960
	v_add_f64 v[16:17], v[44:45], v[50:51]
	v_add_f64 v[20:21], v[48:49], -v[54:55]
	v_fma_f64 v[18:19], v[16:17], -0.5, v[12:13]
	v_add_f64 v[16:17], v[48:49], v[54:55]
	v_add_f64 v[12:13], v[12:13], v[44:45]
	v_add_f64 v[44:45], v[44:45], -v[50:51]
	v_fma_f64 v[22:23], v[16:17], -0.5, v[14:15]
	v_fma_f64 v[16:17], v[20:21], s[6:7], v[18:19]
	v_fma_f64 v[20:21], v[20:21], s[8:9], v[18:19]
	v_add_f64 v[14:15], v[14:15], v[48:49]
	v_add_f64 v[12:13], v[12:13], v[50:51]
	v_fma_f64 v[18:19], v[44:45], s[8:9], v[22:23]
	v_fma_f64 v[22:23], v[44:45], s[6:7], v[22:23]
	buffer_load_dword v44, off, s[36:39], 0 offset:536 ; 4-byte Folded Reload
	v_add_f64 v[14:15], v[14:15], v[54:55]
	s_waitcnt vmcnt(0)
	ds_write_b128 v44, v[12:15]
	ds_write_b128 v44, v[16:19] offset:480
	ds_write_b128 v44, v[20:23] offset:960
	v_add_f64 v[12:13], v[40:41], v[46:47]
	v_add_f64 v[16:17], v[42:43], -v[52:53]
	v_add_f64 v[20:21], v[40:41], -v[46:47]
	v_fma_f64 v[14:15], v[12:13], -0.5, v[8:9]
	v_add_f64 v[12:13], v[42:43], v[52:53]
	v_add_f64 v[8:9], v[8:9], v[40:41]
	v_fma_f64 v[18:19], v[12:13], -0.5, v[10:11]
	v_fma_f64 v[12:13], v[16:17], s[6:7], v[14:15]
	v_fma_f64 v[16:17], v[16:17], s[8:9], v[14:15]
	v_add_f64 v[10:11], v[10:11], v[42:43]
	v_add_f64 v[8:9], v[8:9], v[46:47]
	v_fma_f64 v[14:15], v[20:21], s[8:9], v[18:19]
	v_fma_f64 v[18:19], v[20:21], s[6:7], v[18:19]
	buffer_load_dword v20, off, s[36:39], 0 offset:532 ; 4-byte Folded Reload
	v_add_f64 v[10:11], v[10:11], v[52:53]
	s_waitcnt vmcnt(0)
	ds_write_b128 v20, v[8:11]
	ds_write_b128 v20, v[12:15] offset:480
	ds_write_b128 v20, v[16:19] offset:960
	v_add_f64 v[8:9], v[28:29], v[34:35]
	v_add_f64 v[12:13], v[32:33], -v[38:39]
	v_add_f64 v[16:17], v[28:29], -v[34:35]
	v_fma_f64 v[10:11], v[8:9], -0.5, v[4:5]
	v_add_f64 v[8:9], v[32:33], v[38:39]
	v_add_f64 v[4:5], v[4:5], v[28:29]
	;; [unrolled: 19-line block ×3, first 2 shown]
	v_fma_f64 v[10:11], v[4:5], -0.5, v[2:3]
	v_fma_f64 v[4:5], v[8:9], s[6:7], v[6:7]
	v_fma_f64 v[8:9], v[8:9], s[8:9], v[6:7]
	v_add_f64 v[2:3], v[2:3], v[26:27]
	v_add_f64 v[0:1], v[0:1], v[30:31]
	v_fma_f64 v[6:7], v[12:13], s[8:9], v[10:11]
	v_fma_f64 v[10:11], v[12:13], s[6:7], v[10:11]
	buffer_load_dword v12, off, s[36:39], 0 offset:524 ; 4-byte Folded Reload
	v_add_f64 v[2:3], v[2:3], v[36:37]
	s_waitcnt vmcnt(0)
	ds_write_b128 v12, v[0:3]
	ds_write_b128 v12, v[4:7] offset:480
	ds_write_b128 v12, v[8:11] offset:960
	s_waitcnt lgkmcnt(0)
	s_barrier
	buffer_gl0_inv
	ds_read_b128 v[2:5], v86 offset:12960
	s_clause 0x3
	buffer_load_dword v6, off, s[36:39], 0 offset:492
	buffer_load_dword v7, off, s[36:39], 0 offset:496
	buffer_load_dword v8, off, s[36:39], 0 offset:500
	buffer_load_dword v9, off, s[36:39], 0 offset:504
	s_waitcnt vmcnt(0) lgkmcnt(0)
	v_mul_f64 v[0:1], v[8:9], v[4:5]
	v_fma_f64 v[0:1], v[6:7], v[2:3], v[0:1]
	v_mul_f64 v[2:3], v[8:9], v[2:3]
	v_fma_f64 v[2:3], v[6:7], v[4:5], -v[2:3]
	ds_read_b128 v[6:9], v86 offset:25920
	s_clause 0x3
	buffer_load_dword v10, off, s[36:39], 0 offset:508
	buffer_load_dword v11, off, s[36:39], 0 offset:512
	buffer_load_dword v12, off, s[36:39], 0 offset:516
	buffer_load_dword v13, off, s[36:39], 0 offset:520
	s_waitcnt vmcnt(0) lgkmcnt(0)
	v_mul_f64 v[4:5], v[12:13], v[8:9]
	v_fma_f64 v[4:5], v[10:11], v[6:7], v[4:5]
	v_mul_f64 v[6:7], v[12:13], v[6:7]
	v_fma_f64 v[6:7], v[10:11], v[8:9], -v[6:7]
	;; [unrolled: 11-line block ×20, first 2 shown]
	v_add_f64 v[80:81], v[0:1], v[4:5]
	ds_read_b128 v[8:11], v86
	s_waitcnt lgkmcnt(0)
	v_fma_f64 v[89:90], v[80:81], -0.5, v[8:9]
	v_add_f64 v[80:81], v[2:3], v[6:7]
	v_add_f64 v[8:9], v[8:9], v[0:1]
	v_add_f64 v[0:1], v[0:1], -v[4:5]
	v_fma_f64 v[93:94], v[80:81], -0.5, v[10:11]
	v_add_f64 v[10:11], v[10:11], v[2:3]
	v_add_f64 v[2:3], v[2:3], -v[6:7]
	v_add_f64 v[80:81], v[8:9], v[4:5]
	v_add_f64 v[4:5], v[12:13], v[84:85]
	v_add_f64 v[8:9], v[14:15], -v[95:96]
	v_add_f64 v[82:83], v[10:11], v[6:7]
	v_add_f64 v[6:7], v[14:15], v[95:96]
	v_fma_f64 v[87:88], v[2:3], s[6:7], v[89:90]
	v_fma_f64 v[91:92], v[2:3], s[8:9], v[89:90]
	;; [unrolled: 1-line block ×4, first 2 shown]
	ds_read_b128 v[0:3], v86 offset:1296
	s_waitcnt lgkmcnt(0)
	v_fma_f64 v[4:5], v[4:5], -0.5, v[0:1]
	v_fma_f64 v[6:7], v[6:7], -0.5, v[2:3]
	v_add_f64 v[2:3], v[2:3], v[14:15]
	v_add_f64 v[0:1], v[0:1], v[12:13]
	v_fma_f64 v[99:100], v[8:9], s[6:7], v[4:5]
	v_fma_f64 v[103:104], v[8:9], s[8:9], v[4:5]
	v_add_f64 v[97:98], v[2:3], v[95:96]
	v_add_f64 v[95:96], v[0:1], v[84:85]
	v_add_f64 v[0:1], v[12:13], -v[84:85]
	v_fma_f64 v[101:102], v[0:1], s[8:9], v[6:7]
	v_fma_f64 v[105:106], v[0:1], s[6:7], v[6:7]
	ds_read_b128 v[107:110], v86 offset:2592
	ds_read_b128 v[111:114], v86 offset:3888
	;; [unrolled: 1-line block ×8, first 2 shown]
	s_waitcnt lgkmcnt(0)
	s_barrier
	buffer_gl0_inv
	ds_write_b128 v86, v[80:83]
	ds_write_b128 v86, v[87:90] offset:1440
	ds_write_b128 v86, v[91:94] offset:2880
	buffer_load_dword v80, off, s[36:39], 0 offset:1384 ; 4-byte Folded Reload
	s_waitcnt vmcnt(0)
	ds_write_b128 v80, v[95:98]
	ds_write_b128 v80, v[99:102] offset:1440
	ds_write_b128 v80, v[103:106] offset:2880
	v_add_f64 v[80:81], v[68:69], v[74:75]
	v_add_f64 v[87:88], v[107:108], v[68:69]
	v_add_f64 v[68:69], v[68:69], -v[74:75]
	v_add_f64 v[89:90], v[72:73], -v[78:79]
	v_fma_f64 v[82:83], v[80:81], -0.5, v[107:108]
	v_add_f64 v[80:81], v[72:73], v[78:79]
	v_fma_f64 v[84:85], v[80:81], -0.5, v[109:110]
	v_add_f64 v[80:81], v[109:110], v[72:73]
	v_fma_f64 v[72:73], v[89:90], s[6:7], v[82:83]
	v_fma_f64 v[82:83], v[89:90], s[8:9], v[82:83]
	v_add_f64 v[80:81], v[80:81], v[78:79]
	v_add_f64 v[78:79], v[87:88], v[74:75]
	v_fma_f64 v[74:75], v[68:69], s[8:9], v[84:85]
	v_fma_f64 v[84:85], v[68:69], s[6:7], v[84:85]
	buffer_load_dword v68, off, s[36:39], 0 offset:1380 ; 4-byte Folded Reload
	s_waitcnt vmcnt(0)
	ds_write_b128 v68, v[78:81]
	ds_write_b128 v68, v[72:75] offset:1440
	ds_write_b128 v68, v[82:85] offset:2880
	v_add_f64 v[68:69], v[64:65], v[70:71]
	v_add_f64 v[74:75], v[111:112], v[64:65]
	v_add_f64 v[80:81], v[66:67], -v[76:77]
	v_add_f64 v[64:65], v[64:65], -v[70:71]
	v_fma_f64 v[72:73], v[68:69], -0.5, v[111:112]
	v_add_f64 v[68:69], v[66:67], v[76:77]
	v_fma_f64 v[78:79], v[68:69], -0.5, v[113:114]
	v_add_f64 v[68:69], v[113:114], v[66:67]
	v_add_f64 v[66:67], v[74:75], v[70:71]
	v_fma_f64 v[70:71], v[80:81], s[6:7], v[72:73]
	v_fma_f64 v[74:75], v[80:81], s[8:9], v[72:73]
	;; [unrolled: 1-line block ×3, first 2 shown]
	v_add_f64 v[68:69], v[68:69], v[76:77]
	v_fma_f64 v[76:77], v[64:65], s[6:7], v[78:79]
	buffer_load_dword v64, off, s[36:39], 0 offset:1376 ; 4-byte Folded Reload
	s_waitcnt vmcnt(0)
	ds_write_b128 v64, v[66:69]
	ds_write_b128 v64, v[70:73] offset:1440
	ds_write_b128 v64, v[74:77] offset:2880
	v_add_f64 v[64:65], v[52:53], v[58:59]
	v_add_f64 v[70:71], v[115:116], v[52:53]
	v_add_f64 v[52:53], v[52:53], -v[58:59]
	v_add_f64 v[72:73], v[56:57], -v[62:63]
	v_fma_f64 v[66:67], v[64:65], -0.5, v[115:116]
	v_add_f64 v[64:65], v[56:57], v[62:63]
	v_fma_f64 v[68:69], v[64:65], -0.5, v[117:118]
	v_add_f64 v[64:65], v[117:118], v[56:57]
	v_fma_f64 v[56:57], v[72:73], s[6:7], v[66:67]
	v_fma_f64 v[66:67], v[72:73], s[8:9], v[66:67]
	v_add_f64 v[64:65], v[64:65], v[62:63]
	v_add_f64 v[62:63], v[70:71], v[58:59]
	v_fma_f64 v[58:59], v[52:53], s[8:9], v[68:69]
	v_fma_f64 v[68:69], v[52:53], s[6:7], v[68:69]
	buffer_load_dword v52, off, s[36:39], 0 offset:1368 ; 4-byte Folded Reload
	s_waitcnt vmcnt(0)
	ds_write_b128 v52, v[62:65]
	ds_write_b128 v52, v[56:59] offset:1440
	ds_write_b128 v52, v[66:69] offset:2880
	v_add_f64 v[52:53], v[48:49], v[54:55]
	v_add_f64 v[58:59], v[119:120], v[48:49]
	v_add_f64 v[64:65], v[50:51], -v[60:61]
	v_add_f64 v[48:49], v[48:49], -v[54:55]
	v_fma_f64 v[56:57], v[52:53], -0.5, v[119:120]
	v_add_f64 v[52:53], v[50:51], v[60:61]
	v_fma_f64 v[62:63], v[52:53], -0.5, v[121:122]
	v_add_f64 v[52:53], v[121:122], v[50:51]
	v_add_f64 v[50:51], v[58:59], v[54:55]
	v_fma_f64 v[54:55], v[64:65], s[6:7], v[56:57]
	v_fma_f64 v[58:59], v[64:65], s[8:9], v[56:57]
	;; [unrolled: 1-line block ×3, first 2 shown]
	v_add_f64 v[52:53], v[52:53], v[60:61]
	v_fma_f64 v[60:61], v[48:49], s[6:7], v[62:63]
	buffer_load_dword v48, off, s[36:39], 0 offset:1364 ; 4-byte Folded Reload
	s_waitcnt vmcnt(0)
	ds_write_b128 v48, v[50:53]
	ds_write_b128 v48, v[54:57] offset:1440
	ds_write_b128 v48, v[58:61] offset:2880
	v_add_f64 v[48:49], v[36:37], v[42:43]
	v_add_f64 v[50:51], v[40:41], v[46:47]
	v_add_f64 v[52:53], v[40:41], -v[46:47]
	v_fma_f64 v[48:49], v[48:49], -0.5, v[12:13]
	v_fma_f64 v[50:51], v[50:51], -0.5, v[14:15]
	v_add_f64 v[14:15], v[14:15], v[40:41]
	v_add_f64 v[12:13], v[12:13], v[36:37]
	v_add_f64 v[36:37], v[36:37], -v[42:43]
	v_fma_f64 v[40:41], v[52:53], s[6:7], v[48:49]
	v_add_f64 v[14:15], v[14:15], v[46:47]
	v_add_f64 v[12:13], v[12:13], v[42:43]
	v_fma_f64 v[46:47], v[52:53], s[8:9], v[48:49]
	v_fma_f64 v[42:43], v[36:37], s[8:9], v[50:51]
	;; [unrolled: 1-line block ×3, first 2 shown]
	buffer_load_dword v36, off, s[36:39], 0 offset:1360 ; 4-byte Folded Reload
	s_waitcnt vmcnt(0)
	ds_write_b128 v36, v[12:15]
	ds_write_b128 v36, v[40:43] offset:1440
	ds_write_b128 v36, v[46:49] offset:2880
	v_add_f64 v[12:13], v[32:33], v[38:39]
	v_fma_f64 v[14:15], v[12:13], -0.5, v[8:9]
	v_add_f64 v[12:13], v[34:35], v[44:45]
	v_add_f64 v[8:9], v[8:9], v[32:33]
	v_fma_f64 v[36:37], v[12:13], -0.5, v[10:11]
	v_add_f64 v[10:11], v[10:11], v[34:35]
	v_add_f64 v[34:35], v[34:35], -v[44:45]
	v_add_f64 v[8:9], v[8:9], v[38:39]
	v_add_f64 v[38:39], v[32:33], -v[38:39]
	v_add_f64 v[10:11], v[10:11], v[44:45]
	v_fma_f64 v[12:13], v[34:35], s[6:7], v[14:15]
	v_fma_f64 v[32:33], v[34:35], s[8:9], v[14:15]
	;; [unrolled: 1-line block ×4, first 2 shown]
	buffer_load_dword v36, off, s[36:39], 0 offset:1356 ; 4-byte Folded Reload
	s_waitcnt vmcnt(0)
	ds_write_b128 v36, v[8:11]
	ds_write_b128 v36, v[12:15] offset:1440
	ds_write_b128 v36, v[32:35] offset:2880
	v_add_f64 v[8:9], v[20:21], v[26:27]
	v_add_f64 v[12:13], v[24:25], -v[30:31]
	v_fma_f64 v[10:11], v[8:9], -0.5, v[4:5]
	v_add_f64 v[8:9], v[24:25], v[30:31]
	v_add_f64 v[4:5], v[4:5], v[20:21]
	v_add_f64 v[20:21], v[20:21], -v[26:27]
	v_fma_f64 v[14:15], v[8:9], -0.5, v[6:7]
	v_fma_f64 v[8:9], v[12:13], s[6:7], v[10:11]
	v_fma_f64 v[12:13], v[12:13], s[8:9], v[10:11]
	v_add_f64 v[6:7], v[6:7], v[24:25]
	v_add_f64 v[4:5], v[4:5], v[26:27]
	v_fma_f64 v[10:11], v[20:21], s[8:9], v[14:15]
	v_fma_f64 v[14:15], v[20:21], s[6:7], v[14:15]
	buffer_load_dword v20, off, s[36:39], 0 offset:1352 ; 4-byte Folded Reload
	v_add_f64 v[6:7], v[6:7], v[30:31]
	s_waitcnt vmcnt(0)
	ds_write_b128 v20, v[4:7]
	ds_write_b128 v20, v[8:11] offset:1440
	ds_write_b128 v20, v[12:15] offset:2880
	v_add_f64 v[4:5], v[16:17], v[22:23]
	v_add_f64 v[8:9], v[18:19], -v[28:29]
	v_add_f64 v[12:13], v[16:17], -v[22:23]
	v_fma_f64 v[6:7], v[4:5], -0.5, v[0:1]
	v_add_f64 v[4:5], v[18:19], v[28:29]
	v_add_f64 v[0:1], v[0:1], v[16:17]
	v_fma_f64 v[10:11], v[4:5], -0.5, v[2:3]
	v_fma_f64 v[4:5], v[8:9], s[6:7], v[6:7]
	v_fma_f64 v[8:9], v[8:9], s[8:9], v[6:7]
	v_add_f64 v[2:3], v[2:3], v[18:19]
	v_add_f64 v[0:1], v[0:1], v[22:23]
	v_fma_f64 v[6:7], v[12:13], s[8:9], v[10:11]
	v_fma_f64 v[10:11], v[12:13], s[6:7], v[10:11]
	buffer_load_dword v12, off, s[36:39], 0 offset:1348 ; 4-byte Folded Reload
	v_add_f64 v[2:3], v[2:3], v[28:29]
	s_waitcnt vmcnt(0)
	ds_write_b128 v12, v[0:3] offset:34560
	ds_write_b128 v12, v[4:7] offset:36000
	;; [unrolled: 1-line block ×3, first 2 shown]
	s_waitcnt lgkmcnt(0)
	s_barrier
	buffer_gl0_inv
	ds_read_b128 v[2:5], v86 offset:12960
	s_clause 0x3
	buffer_load_dword v6, off, s[36:39], 0 offset:1316
	buffer_load_dword v7, off, s[36:39], 0 offset:1320
	;; [unrolled: 1-line block ×4, first 2 shown]
	s_waitcnt vmcnt(0) lgkmcnt(0)
	v_mul_f64 v[0:1], v[8:9], v[4:5]
	v_fma_f64 v[0:1], v[6:7], v[2:3], v[0:1]
	v_mul_f64 v[2:3], v[8:9], v[2:3]
	v_fma_f64 v[2:3], v[6:7], v[4:5], -v[2:3]
	ds_read_b128 v[6:9], v86 offset:25920
	s_clause 0x3
	buffer_load_dword v10, off, s[36:39], 0 offset:1332
	buffer_load_dword v11, off, s[36:39], 0 offset:1336
	;; [unrolled: 1-line block ×4, first 2 shown]
	s_waitcnt vmcnt(0) lgkmcnt(0)
	v_mul_f64 v[4:5], v[12:13], v[8:9]
	v_fma_f64 v[4:5], v[10:11], v[6:7], v[4:5]
	v_mul_f64 v[6:7], v[12:13], v[6:7]
	v_add_f64 v[60:61], v[0:1], v[4:5]
	v_fma_f64 v[6:7], v[10:11], v[8:9], -v[6:7]
	ds_read_b128 v[8:11], v86 offset:14256
	s_clause 0x3
	buffer_load_dword v14, off, s[36:39], 0 offset:1296
	buffer_load_dword v15, off, s[36:39], 0 offset:1300
	;; [unrolled: 1-line block ×4, first 2 shown]
	s_waitcnt vmcnt(0) lgkmcnt(0)
	v_mul_f64 v[12:13], v[16:17], v[10:11]
	v_fma_f64 v[72:73], v[14:15], v[8:9], v[12:13]
	v_mul_f64 v[8:9], v[16:17], v[8:9]
	v_fma_f64 v[68:69], v[14:15], v[10:11], -v[8:9]
	ds_read_b128 v[8:11], v86 offset:27216
	s_clause 0x3
	buffer_load_dword v14, off, s[36:39], 0 offset:1248
	buffer_load_dword v15, off, s[36:39], 0 offset:1252
	;; [unrolled: 1-line block ×4, first 2 shown]
	s_waitcnt vmcnt(0) lgkmcnt(0)
	v_mul_f64 v[12:13], v[16:17], v[10:11]
	v_fma_f64 v[74:75], v[14:15], v[8:9], v[12:13]
	v_mul_f64 v[8:9], v[16:17], v[8:9]
	v_fma_f64 v[70:71], v[14:15], v[10:11], -v[8:9]
	ds_read_b128 v[8:11], v86 offset:15552
	s_clause 0x3
	buffer_load_dword v14, off, s[36:39], 0 offset:1264
	buffer_load_dword v15, off, s[36:39], 0 offset:1268
	;; [unrolled: 1-line block ×4, first 2 shown]
	v_add_f64 v[76:77], v[68:69], -v[70:71]
	s_waitcnt vmcnt(0) lgkmcnt(0)
	v_mul_f64 v[12:13], v[16:17], v[10:11]
	v_fma_f64 v[84:85], v[14:15], v[8:9], v[12:13]
	v_mul_f64 v[8:9], v[16:17], v[8:9]
	v_fma_f64 v[80:81], v[14:15], v[10:11], -v[8:9]
	ds_read_b128 v[8:11], v86 offset:28512
	s_clause 0x3
	buffer_load_dword v14, off, s[36:39], 0 offset:1280
	buffer_load_dword v15, off, s[36:39], 0 offset:1284
	;; [unrolled: 1-line block ×4, first 2 shown]
	s_waitcnt vmcnt(0) lgkmcnt(0)
	v_mul_f64 v[12:13], v[16:17], v[10:11]
	v_fma_f64 v[87:88], v[14:15], v[8:9], v[12:13]
	v_mul_f64 v[8:9], v[16:17], v[8:9]
	v_fma_f64 v[82:83], v[14:15], v[10:11], -v[8:9]
	ds_read_b128 v[8:11], v86 offset:16848
	s_clause 0x3
	buffer_load_dword v14, off, s[36:39], 0 offset:1700
	buffer_load_dword v15, off, s[36:39], 0 offset:1704
	;; [unrolled: 1-line block ×4, first 2 shown]
	v_add_f64 v[89:90], v[80:81], -v[82:83]
	s_waitcnt vmcnt(0) lgkmcnt(0)
	v_mul_f64 v[12:13], v[16:17], v[10:11]
	v_fma_f64 v[99:100], v[14:15], v[8:9], v[12:13]
	v_mul_f64 v[8:9], v[16:17], v[8:9]
	v_fma_f64 v[95:96], v[14:15], v[10:11], -v[8:9]
	ds_read_b128 v[8:11], v86 offset:29808
	s_clause 0x3
	buffer_load_dword v14, off, s[36:39], 0 offset:1684
	buffer_load_dword v15, off, s[36:39], 0 offset:1688
	buffer_load_dword v16, off, s[36:39], 0 offset:1692
	buffer_load_dword v17, off, s[36:39], 0 offset:1696
	s_waitcnt vmcnt(0) lgkmcnt(0)
	v_mul_f64 v[12:13], v[16:17], v[10:11]
	v_fma_f64 v[101:102], v[14:15], v[8:9], v[12:13]
	v_mul_f64 v[8:9], v[16:17], v[8:9]
	v_fma_f64 v[97:98], v[14:15], v[10:11], -v[8:9]
	ds_read_b128 v[8:11], v86 offset:18144
	s_clause 0x3
	buffer_load_dword v14, off, s[36:39], 0 offset:1716
	buffer_load_dword v15, off, s[36:39], 0 offset:1720
	buffer_load_dword v16, off, s[36:39], 0 offset:1724
	buffer_load_dword v17, off, s[36:39], 0 offset:1728
	;; [unrolled: 11-line block ×4, first 2 shown]
	ds_read_b128 v[24:27], v86 offset:24624
	ds_read_b128 v[56:59], v86 offset:37584
	s_waitcnt vmcnt(0) lgkmcnt(2)
	v_mul_f64 v[12:13], v[16:17], v[10:11]
	v_fma_f64 v[40:41], v[14:15], v[8:9], v[12:13]
	v_mul_f64 v[8:9], v[16:17], v[8:9]
	v_fma_f64 v[42:43], v[14:15], v[10:11], -v[8:9]
	ds_read_b128 v[8:11], v86 offset:32400
	s_waitcnt lgkmcnt(0)
	v_mul_f64 v[12:13], v[249:250], v[10:11]
	v_fma_f64 v[50:51], v[247:248], v[8:9], v[12:13]
	v_mul_f64 v[8:9], v[249:250], v[8:9]
	v_fma_f64 v[54:55], v[247:248], v[10:11], -v[8:9]
	ds_read_b128 v[8:11], v86 offset:20736
	s_waitcnt lgkmcnt(0)
	;; [unrolled: 6-line block ×7, first 2 shown]
	v_mul_f64 v[18:19], v[221:222], v[10:11]
	v_fma_f64 v[18:19], v[219:220], v[8:9], v[18:19]
	v_mul_f64 v[8:9], v[221:222], v[8:9]
	v_fma_f64 v[20:21], v[219:220], v[10:11], -v[8:9]
	v_mul_f64 v[8:9], v[225:226], v[26:27]
	v_mul_f64 v[10:11], v[225:226], v[24:25]
	v_fma_f64 v[8:9], v[223:224], v[24:25], v[8:9]
	v_fma_f64 v[10:11], v[223:224], v[26:27], -v[10:11]
	v_mul_f64 v[24:25], v[217:218], v[58:59]
	v_mul_f64 v[26:27], v[217:218], v[56:57]
	v_fma_f64 v[24:25], v[215:216], v[56:57], v[24:25]
	v_fma_f64 v[26:27], v[215:216], v[58:59], -v[26:27]
	ds_read_b128 v[56:59], v86
	s_waitcnt lgkmcnt(0)
	v_fma_f64 v[62:63], v[60:61], -0.5, v[56:57]
	v_add_f64 v[60:61], v[2:3], v[6:7]
	v_add_f64 v[56:57], v[56:57], v[0:1]
	v_add_f64 v[0:1], v[0:1], -v[4:5]
	v_fma_f64 v[66:67], v[60:61], -0.5, v[58:59]
	v_add_f64 v[58:59], v[58:59], v[2:3]
	v_add_f64 v[2:3], v[2:3], -v[6:7]
	v_add_f64 v[56:57], v[56:57], v[4:5]
	v_add_f64 v[4:5], v[72:73], v[74:75]
	;; [unrolled: 1-line block ×3, first 2 shown]
	v_fma_f64 v[60:61], v[2:3], s[6:7], v[62:63]
	v_fma_f64 v[64:65], v[2:3], s[8:9], v[62:63]
	;; [unrolled: 1-line block ×4, first 2 shown]
	ds_read_b128 v[0:3], v86 offset:1296
	v_add_f64 v[6:7], v[68:69], v[70:71]
	s_waitcnt lgkmcnt(0)
	v_fma_f64 v[4:5], v[4:5], -0.5, v[0:1]
	v_add_f64 v[0:1], v[0:1], v[72:73]
	v_fma_f64 v[6:7], v[6:7], -0.5, v[2:3]
	v_add_f64 v[2:3], v[2:3], v[68:69]
	v_add_f64 v[68:69], v[0:1], v[74:75]
	v_add_f64 v[0:1], v[72:73], -v[74:75]
	v_fma_f64 v[72:73], v[76:77], s[6:7], v[4:5]
	v_fma_f64 v[76:77], v[76:77], s[8:9], v[4:5]
	v_add_f64 v[4:5], v[84:85], v[87:88]
	v_add_f64 v[70:71], v[2:3], v[70:71]
	v_fma_f64 v[74:75], v[0:1], s[8:9], v[6:7]
	v_fma_f64 v[78:79], v[0:1], s[6:7], v[6:7]
	ds_read_b128 v[0:3], v86 offset:2592
	v_add_f64 v[6:7], v[80:81], v[82:83]
	s_waitcnt lgkmcnt(0)
	v_fma_f64 v[4:5], v[4:5], -0.5, v[0:1]
	v_add_f64 v[0:1], v[0:1], v[84:85]
	v_fma_f64 v[6:7], v[6:7], -0.5, v[2:3]
	v_add_f64 v[2:3], v[2:3], v[80:81]
	v_fma_f64 v[91:92], v[89:90], s[8:9], v[4:5]
	v_add_f64 v[80:81], v[0:1], v[87:88]
	v_add_f64 v[0:1], v[84:85], -v[87:88]
	v_fma_f64 v[87:88], v[89:90], s[6:7], v[4:5]
	v_add_f64 v[4:5], v[99:100], v[101:102]
	v_add_f64 v[82:83], v[2:3], v[82:83]
	v_add_f64 v[84:85], v[95:96], -v[97:98]
	v_fma_f64 v[89:90], v[0:1], s[8:9], v[6:7]
	v_fma_f64 v[93:94], v[0:1], s[6:7], v[6:7]
	ds_read_b128 v[0:3], v86 offset:3888
	v_add_f64 v[6:7], v[95:96], v[97:98]
	s_waitcnt lgkmcnt(0)
	v_fma_f64 v[4:5], v[4:5], -0.5, v[0:1]
	v_add_f64 v[0:1], v[0:1], v[99:100]
	v_fma_f64 v[6:7], v[6:7], -0.5, v[2:3]
	v_add_f64 v[2:3], v[2:3], v[95:96]
	v_fma_f64 v[103:104], v[84:85], s[8:9], v[4:5]
	v_add_f64 v[95:96], v[0:1], v[101:102]
	v_add_f64 v[0:1], v[99:100], -v[101:102]
	v_fma_f64 v[99:100], v[84:85], s[6:7], v[4:5]
	v_add_f64 v[97:98], v[2:3], v[97:98]
	v_fma_f64 v[101:102], v[0:1], s[8:9], v[6:7]
	v_fma_f64 v[105:106], v[0:1], s[6:7], v[6:7]
	ds_read_b128 v[107:110], v86 offset:5184
	ds_read_b128 v[111:114], v86 offset:6480
	;; [unrolled: 1-line block ×6, first 2 shown]
	s_waitcnt lgkmcnt(0)
	s_barrier
	buffer_gl0_inv
	ds_write_b128 v86, v[56:59]
	ds_write_b128 v86, v[60:63] offset:4320
	ds_write_b128 v86, v[64:67] offset:8640
	;; [unrolled: 1-line block ×8, first 2 shown]
	buffer_load_dword v56, off, s[36:39], 0 offset:1780 ; 4-byte Folded Reload
	s_waitcnt vmcnt(0)
	ds_write_b128 v56, v[95:98]
	ds_write_b128 v56, v[99:102] offset:4320
	ds_write_b128 v56, v[103:106] offset:8640
	v_add_f64 v[56:57], v[32:33], v[36:37]
	v_add_f64 v[64:65], v[107:108], v[32:33]
	;; [unrolled: 1-line block ×3, first 2 shown]
	v_fma_f64 v[60:61], v[56:57], -0.5, v[107:108]
	v_add_f64 v[56:57], v[34:35], v[38:39]
	v_fma_f64 v[62:63], v[56:57], -0.5, v[109:110]
	v_add_f64 v[56:57], v[109:110], v[34:35]
	v_add_f64 v[34:35], v[34:35], -v[38:39]
	v_add_f64 v[58:59], v[56:57], v[38:39]
	v_add_f64 v[56:57], v[64:65], v[36:37]
	v_add_f64 v[38:39], v[32:33], -v[36:37]
	v_fma_f64 v[32:33], v[34:35], s[6:7], v[60:61]
	v_fma_f64 v[36:37], v[34:35], s[8:9], v[60:61]
	v_add_f64 v[60:61], v[40:41], v[50:51]
	v_fma_f64 v[34:35], v[38:39], s[8:9], v[62:63]
	v_fma_f64 v[38:39], v[38:39], s[6:7], v[62:63]
	v_fma_f64 v[64:65], v[60:61], -0.5, v[111:112]
	v_add_f64 v[60:61], v[42:43], v[54:55]
	v_fma_f64 v[66:67], v[60:61], -0.5, v[113:114]
	v_add_f64 v[60:61], v[113:114], v[42:43]
	v_add_f64 v[42:43], v[42:43], -v[54:55]
	v_add_f64 v[62:63], v[60:61], v[54:55]
	v_add_f64 v[60:61], v[68:69], v[50:51]
	v_add_f64 v[50:51], v[40:41], -v[50:51]
	v_fma_f64 v[40:41], v[42:43], s[6:7], v[64:65]
	v_fma_f64 v[64:65], v[42:43], s[8:9], v[64:65]
	v_add_f64 v[68:69], v[115:116], v[44:45]
	v_fma_f64 v[42:43], v[50:51], s[8:9], v[66:67]
	v_fma_f64 v[66:67], v[50:51], s[6:7], v[66:67]
	ds_write_b128 v86, v[56:59] offset:13824
	ds_write_b128 v86, v[32:35] offset:18144
	ds_write_b128 v86, v[36:39] offset:22464
	ds_write_b128 v86, v[60:63] offset:15120
	ds_write_b128 v86, v[40:43] offset:19440
	ds_write_b128 v86, v[64:67] offset:23760
	buffer_load_dword v32, off, s[36:39], 0 offset:1776 ; 4-byte Folded Reload
	v_add_f64 v[50:51], v[44:45], v[48:49]
	v_add_f64 v[34:35], v[119:120], v[14:15]
	v_fma_f64 v[54:55], v[50:51], -0.5, v[115:116]
	v_add_f64 v[50:51], v[46:47], v[52:53]
	v_fma_f64 v[70:71], v[50:51], -0.5, v[117:118]
	v_add_f64 v[50:51], v[117:118], v[46:47]
	v_add_f64 v[46:47], v[46:47], -v[52:53]
	v_add_f64 v[52:53], v[50:51], v[52:53]
	v_add_f64 v[50:51], v[68:69], v[48:49]
	v_add_f64 v[48:49], v[44:45], -v[48:49]
	v_fma_f64 v[44:45], v[46:47], s[6:7], v[54:55]
	v_fma_f64 v[68:69], v[46:47], s[8:9], v[54:55]
	;; [unrolled: 1-line block ×4, first 2 shown]
	s_waitcnt vmcnt(0)
	ds_write_b128 v32, v[50:53]
	ds_write_b128 v32, v[44:47] offset:4320
	ds_write_b128 v32, v[68:71] offset:8640
	v_add_f64 v[32:33], v[14:15], v[28:29]
	v_add_f64 v[14:15], v[14:15], -v[28:29]
	v_fma_f64 v[36:37], v[32:33], -0.5, v[119:120]
	v_add_f64 v[32:33], v[22:23], v[30:31]
	v_fma_f64 v[40:41], v[32:33], -0.5, v[121:122]
	v_add_f64 v[32:33], v[121:122], v[22:23]
	v_add_f64 v[22:23], v[22:23], -v[30:31]
	v_add_f64 v[32:33], v[32:33], v[30:31]
	v_add_f64 v[30:31], v[34:35], v[28:29]
	v_fma_f64 v[34:35], v[22:23], s[6:7], v[36:37]
	v_fma_f64 v[38:39], v[22:23], s[8:9], v[36:37]
	;; [unrolled: 1-line block ×4, first 2 shown]
	buffer_load_dword v14, off, s[36:39], 0 offset:1772 ; 4-byte Folded Reload
	v_add_f64 v[22:23], v[16:17], v[20:21]
	s_waitcnt vmcnt(0)
	ds_write_b128 v14, v[30:33] offset:25920
	ds_write_b128 v14, v[34:37] offset:30240
	;; [unrolled: 1-line block ×3, first 2 shown]
	v_fma_f64 v[22:23], v[22:23], -0.5, v[6:7]
	v_add_f64 v[6:7], v[6:7], v[16:17]
	v_add_f64 v[16:17], v[16:17], -v[20:21]
	v_add_f64 v[14:15], v[12:13], v[18:19]
	v_add_f64 v[6:7], v[6:7], v[20:21]
	buffer_load_dword v20, off, s[36:39], 0 offset:1768 ; 4-byte Folded Reload
	v_fma_f64 v[14:15], v[14:15], -0.5, v[4:5]
	v_add_f64 v[4:5], v[4:5], v[12:13]
	v_add_f64 v[4:5], v[4:5], v[18:19]
	v_add_f64 v[18:19], v[12:13], -v[18:19]
	v_fma_f64 v[12:13], v[16:17], s[6:7], v[14:15]
	v_fma_f64 v[16:17], v[16:17], s[8:9], v[14:15]
	;; [unrolled: 1-line block ×4, first 2 shown]
	s_waitcnt vmcnt(0)
	ds_write_b128 v20, v[4:7] offset:25920
	ds_write_b128 v20, v[12:15] offset:30240
	;; [unrolled: 1-line block ×3, first 2 shown]
	v_add_f64 v[4:5], v[8:9], v[24:25]
	v_add_f64 v[14:15], v[8:9], -v[24:25]
	v_fma_f64 v[6:7], v[4:5], -0.5, v[0:1]
	v_add_f64 v[4:5], v[10:11], v[26:27]
	v_add_f64 v[0:1], v[0:1], v[8:9]
	v_fma_f64 v[12:13], v[4:5], -0.5, v[2:3]
	v_add_f64 v[2:3], v[2:3], v[10:11]
	v_add_f64 v[10:11], v[10:11], -v[26:27]
	v_add_f64 v[0:1], v[0:1], v[24:25]
	v_add_f64 v[2:3], v[2:3], v[26:27]
	v_fma_f64 v[4:5], v[10:11], s[6:7], v[6:7]
	v_fma_f64 v[8:9], v[10:11], s[8:9], v[6:7]
	;; [unrolled: 1-line block ×4, first 2 shown]
	buffer_load_dword v12, off, s[36:39], 0 offset:1764 ; 4-byte Folded Reload
	s_waitcnt vmcnt(0)
	ds_write_b128 v12, v[0:3] offset:25920
	ds_write_b128 v12, v[4:7] offset:30240
	;; [unrolled: 1-line block ×3, first 2 shown]
	s_waitcnt lgkmcnt(0)
	s_barrier
	buffer_gl0_inv
	ds_read_b128 v[2:5], v86 offset:12960
	ds_read_b128 v[114:117], v86 offset:9072
	;; [unrolled: 1-line block ×3, first 2 shown]
	s_waitcnt lgkmcnt(2)
	v_mul_f64 v[0:1], v[157:158], v[4:5]
	v_fma_f64 v[0:1], v[155:156], v[2:3], v[0:1]
	v_mul_f64 v[2:3], v[157:158], v[2:3]
	v_fma_f64 v[2:3], v[155:156], v[4:5], -v[2:3]
	ds_read_b128 v[4:7], v86 offset:25920
	s_waitcnt lgkmcnt(0)
	v_mul_f64 v[8:9], v[209:210], v[6:7]
	v_fma_f64 v[12:13], v[207:208], v[4:5], v[8:9]
	v_mul_f64 v[4:5], v[209:210], v[4:5]
	v_fma_f64 v[8:9], v[207:208], v[6:7], -v[4:5]
	ds_read_b128 v[4:7], v86 offset:14256
	;; [unrolled: 6-line block ×7, first 2 shown]
	s_waitcnt lgkmcnt(0)
	v_mul_f64 v[10:11], v[189:190], v[6:7]
	v_fma_f64 v[40:41], v[187:188], v[4:5], v[10:11]
	v_mul_f64 v[4:5], v[189:190], v[4:5]
	v_add_f64 v[102:103], v[36:37], -v[40:41]
	v_fma_f64 v[42:43], v[187:188], v[6:7], -v[4:5]
	ds_read_b128 v[4:7], v86 offset:18144
	s_waitcnt lgkmcnt(0)
	v_mul_f64 v[10:11], v[185:186], v[6:7]
	v_add_f64 v[58:59], v[38:39], v[42:43]
	v_fma_f64 v[48:49], v[183:184], v[4:5], v[10:11]
	v_mul_f64 v[4:5], v[185:186], v[4:5]
	v_fma_f64 v[50:51], v[183:184], v[6:7], -v[4:5]
	ds_read_b128 v[4:7], v86 offset:31104
	s_waitcnt lgkmcnt(0)
	v_mul_f64 v[10:11], v[177:178], v[6:7]
	v_fma_f64 v[52:53], v[175:176], v[4:5], v[10:11]
	v_mul_f64 v[4:5], v[177:178], v[4:5]
	v_add_f64 v[106:107], v[48:49], -v[52:53]
	v_fma_f64 v[54:55], v[175:176], v[6:7], -v[4:5]
	ds_read_b128 v[4:7], v86 offset:19440
	s_waitcnt lgkmcnt(0)
	v_mul_f64 v[10:11], v[181:182], v[6:7]
	v_add_f64 v[104:105], v[50:51], v[54:55]
	v_fma_f64 v[92:93], v[179:180], v[4:5], v[10:11]
	v_mul_f64 v[4:5], v[181:182], v[4:5]
	v_fma_f64 v[94:95], v[179:180], v[6:7], -v[4:5]
	ds_read_b128 v[4:7], v86 offset:32400
	s_waitcnt lgkmcnt(0)
	v_mul_f64 v[10:11], v[173:174], v[6:7]
	v_fma_f64 v[96:97], v[171:172], v[4:5], v[10:11]
	v_mul_f64 v[4:5], v[173:174], v[4:5]
	v_fma_f64 v[98:99], v[171:172], v[6:7], -v[4:5]
	ds_read_b128 v[4:7], v86 offset:20736
	s_waitcnt lgkmcnt(0)
	v_mul_f64 v[10:11], v[169:170], v[6:7]
	v_add_f64 v[108:109], v[94:95], v[98:99]
	v_fma_f64 v[84:85], v[167:168], v[4:5], v[10:11]
	v_mul_f64 v[4:5], v[169:170], v[4:5]
	v_fma_f64 v[100:101], v[167:168], v[6:7], -v[4:5]
	ds_read_b128 v[4:7], v86 offset:33696
	s_waitcnt lgkmcnt(0)
	v_mul_f64 v[10:11], v[165:166], v[6:7]
	v_fma_f64 v[88:89], v[163:164], v[4:5], v[10:11]
	v_mul_f64 v[4:5], v[165:166], v[4:5]
	v_add_f64 v[110:111], v[84:85], v[88:89]
	v_fma_f64 v[90:91], v[163:164], v[6:7], -v[4:5]
	ds_read_b128 v[4:7], v86 offset:22032
	s_waitcnt lgkmcnt(0)
	v_mul_f64 v[10:11], v[254:255], v[6:7]
	v_add_f64 v[112:113], v[100:101], v[90:91]
	v_fma_f64 v[72:73], v[252:253], v[4:5], v[10:11]
	v_mul_f64 v[4:5], v[254:255], v[4:5]
	v_fma_f64 v[76:77], v[252:253], v[6:7], -v[4:5]
	ds_read_b128 v[4:7], v86 offset:34992
	s_waitcnt lgkmcnt(0)
	v_mul_f64 v[10:11], v[161:162], v[6:7]
	v_fma_f64 v[80:81], v[159:160], v[4:5], v[10:11]
	v_mul_f64 v[4:5], v[161:162], v[4:5]
	v_fma_f64 v[82:83], v[159:160], v[6:7], -v[4:5]
	ds_read_b128 v[4:7], v86 offset:23328
	s_waitcnt lgkmcnt(0)
	v_mul_f64 v[10:11], v[152:153], v[6:7]
	;; [unrolled: 6-line block ×5, first 2 shown]
	v_fma_f64 v[64:65], v[138:139], v[4:5], v[10:11]
	v_mul_f64 v[4:5], v[140:141], v[4:5]
	v_add_f64 v[10:11], v[0:1], v[12:13]
	v_fma_f64 v[66:67], v[138:139], v[6:7], -v[4:5]
	ds_read_b128 v[4:7], v86
	s_waitcnt lgkmcnt(0)
	v_fma_f64 v[14:15], v[10:11], -0.5, v[4:5]
	v_add_f64 v[10:11], v[2:3], v[8:9]
	v_add_f64 v[4:5], v[4:5], v[0:1]
	v_fma_f64 v[22:23], v[10:11], -0.5, v[6:7]
	v_add_f64 v[6:7], v[6:7], v[2:3]
	v_add_f64 v[2:3], v[2:3], -v[8:9]
	v_add_f64 v[10:11], v[6:7], v[8:9]
	v_add_f64 v[8:9], v[4:5], v[12:13]
	v_add_f64 v[12:13], v[0:1], -v[12:13]
	v_fma_f64 v[4:5], v[2:3], s[6:7], v[14:15]
	v_fma_f64 v[0:1], v[2:3], s[8:9], v[14:15]
	;; [unrolled: 1-line block ×4, first 2 shown]
	v_add_f64 v[22:23], v[16:17], v[24:25]
	ds_read_b128 v[12:15], v86 offset:1296
	s_waitcnt lgkmcnt(0)
	v_fma_f64 v[26:27], v[22:23], -0.5, v[12:13]
	v_add_f64 v[22:23], v[18:19], v[20:21]
	v_add_f64 v[12:13], v[12:13], v[16:17]
	v_fma_f64 v[34:35], v[22:23], -0.5, v[14:15]
	v_add_f64 v[14:15], v[14:15], v[18:19]
	v_add_f64 v[18:19], v[18:19], -v[20:21]
	v_add_f64 v[22:23], v[14:15], v[20:21]
	v_add_f64 v[14:15], v[16:17], -v[24:25]
	v_add_f64 v[20:21], v[12:13], v[24:25]
	v_fma_f64 v[16:17], v[18:19], s[6:7], v[26:27]
	v_fma_f64 v[12:13], v[18:19], s[8:9], v[26:27]
	ds_read_b128 v[24:27], v86 offset:2592
	v_fma_f64 v[18:19], v[14:15], s[8:9], v[34:35]
	v_fma_f64 v[14:15], v[14:15], s[6:7], v[34:35]
	v_add_f64 v[34:35], v[28:29], v[44:45]
	s_waitcnt lgkmcnt(0)
	v_fma_f64 v[46:47], v[34:35], -0.5, v[24:25]
	v_add_f64 v[34:35], v[30:31], v[32:33]
	v_add_f64 v[24:25], v[24:25], v[28:29]
	v_fma_f64 v[56:57], v[34:35], -0.5, v[26:27]
	v_add_f64 v[26:27], v[26:27], v[30:31]
	v_add_f64 v[30:31], v[30:31], -v[32:33]
	v_add_f64 v[34:35], v[26:27], v[32:33]
	v_add_f64 v[26:27], v[28:29], -v[44:45]
	v_add_f64 v[32:33], v[24:25], v[44:45]
	v_fma_f64 v[28:29], v[30:31], s[6:7], v[46:47]
	v_fma_f64 v[24:25], v[30:31], s[8:9], v[46:47]
	ds_read_b128 v[44:47], v86 offset:3888
	v_fma_f64 v[30:31], v[26:27], s[8:9], v[56:57]
	v_fma_f64 v[26:27], v[26:27], s[6:7], v[56:57]
	v_add_f64 v[56:57], v[36:37], v[40:41]
	s_waitcnt lgkmcnt(0)
	v_fma_f64 v[58:59], v[58:59], -0.5, v[46:47]
	v_add_f64 v[46:47], v[46:47], v[38:39]
	v_add_f64 v[38:39], v[38:39], -v[42:43]
	v_fma_f64 v[56:57], v[56:57], -0.5, v[44:45]
	v_add_f64 v[44:45], v[44:45], v[36:37]
	v_add_f64 v[46:47], v[46:47], v[42:43]
	v_fma_f64 v[42:43], v[102:103], s[8:9], v[58:59]
	v_fma_f64 v[36:37], v[38:39], s[8:9], v[56:57]
	v_add_f64 v[44:45], v[44:45], v[40:41]
	v_fma_f64 v[40:41], v[38:39], s[6:7], v[56:57]
	v_fma_f64 v[38:39], v[102:103], s[6:7], v[58:59]
	v_add_f64 v[102:103], v[48:49], v[52:53]
	ds_read_b128 v[56:59], v86 offset:5184
	s_waitcnt lgkmcnt(0)
	v_fma_f64 v[104:105], v[104:105], -0.5, v[58:59]
	v_fma_f64 v[102:103], v[102:103], -0.5, v[56:57]
	v_add_f64 v[58:59], v[58:59], v[50:51]
	v_add_f64 v[56:57], v[56:57], v[48:49]
	v_add_f64 v[50:51], v[50:51], -v[54:55]
	v_add_f64 v[58:59], v[58:59], v[54:55]
	v_add_f64 v[56:57], v[56:57], v[52:53]
	v_fma_f64 v[52:53], v[50:51], s[6:7], v[102:103]
	v_fma_f64 v[48:49], v[50:51], s[8:9], v[102:103]
	;; [unrolled: 1-line block ×4, first 2 shown]
	ds_read_b128 v[102:105], v86 offset:6480
	v_add_f64 v[106:107], v[92:93], v[96:97]
	s_waitcnt lgkmcnt(0)
	v_fma_f64 v[108:109], v[108:109], -0.5, v[104:105]
	v_add_f64 v[104:105], v[104:105], v[94:95]
	v_add_f64 v[94:95], v[94:95], -v[98:99]
	v_fma_f64 v[106:107], v[106:107], -0.5, v[102:103]
	v_add_f64 v[102:103], v[102:103], v[92:93]
	v_add_f64 v[104:105], v[104:105], v[98:99]
	v_add_f64 v[98:99], v[92:93], -v[96:97]
	v_fma_f64 v[92:93], v[94:95], s[6:7], v[106:107]
	v_add_f64 v[102:103], v[102:103], v[96:97]
	v_fma_f64 v[96:97], v[94:95], s[8:9], v[106:107]
	v_fma_f64 v[94:95], v[98:99], s[8:9], v[108:109]
	;; [unrolled: 1-line block ×3, first 2 shown]
	ds_read_b128 v[106:109], v86 offset:7776
	s_waitcnt lgkmcnt(0)
	v_fma_f64 v[110:111], v[110:111], -0.5, v[106:107]
	v_fma_f64 v[112:113], v[112:113], -0.5, v[108:109]
	v_add_f64 v[108:109], v[108:109], v[100:101]
	v_add_f64 v[106:107], v[106:107], v[84:85]
	v_add_f64 v[84:85], v[84:85], -v[88:89]
	v_add_f64 v[100:101], v[100:101], -v[90:91]
	v_add_f64 v[108:109], v[108:109], v[90:91]
	v_add_f64 v[106:107], v[106:107], v[88:89]
	v_fma_f64 v[89:90], v[84:85], s[8:9], v[112:113]
	v_fma_f64 v[112:113], v[84:85], s[6:7], v[112:113]
	v_add_f64 v[84:85], v[72:73], v[80:81]
	v_fma_f64 v[87:88], v[100:101], s[6:7], v[110:111]
	v_fma_f64 v[110:111], v[100:101], s[8:9], v[110:111]
	v_fma_f64 v[100:101], v[84:85], -0.5, v[114:115]
	v_add_f64 v[84:85], v[76:77], v[82:83]
	v_add_f64 v[114:115], v[114:115], v[72:73]
	v_add_f64 v[72:73], v[72:73], -v[80:81]
	v_fma_f64 v[120:121], v[84:85], -0.5, v[116:117]
	v_add_f64 v[84:85], v[116:117], v[76:77]
	v_add_f64 v[76:77], v[76:77], -v[82:83]
	v_fma_f64 v[116:117], v[72:73], s[8:9], v[120:121]
	v_fma_f64 v[120:121], v[72:73], s[6:7], v[120:121]
	v_add_f64 v[72:73], v[68:69], v[74:75]
	v_add_f64 v[84:85], v[84:85], v[82:83]
	;; [unrolled: 1-line block ×3, first 2 shown]
	v_fma_f64 v[114:115], v[76:77], s[6:7], v[100:101]
	v_fma_f64 v[118:119], v[76:77], s[8:9], v[100:101]
	v_add_f64 v[100:101], v[122:123], v[68:69]
	v_add_f64 v[68:69], v[68:69], -v[74:75]
	v_fma_f64 v[76:77], v[72:73], -0.5, v[122:123]
	v_add_f64 v[72:73], v[70:71], v[78:79]
	v_add_f64 v[122:123], v[70:71], -v[78:79]
	v_fma_f64 v[80:81], v[72:73], -0.5, v[124:125]
	v_add_f64 v[72:73], v[124:125], v[70:71]
	v_add_f64 v[70:71], v[100:101], v[74:75]
	v_fma_f64 v[74:75], v[122:123], s[6:7], v[76:77]
	v_add_f64 v[72:73], v[72:73], v[78:79]
	v_fma_f64 v[78:79], v[122:123], s[8:9], v[76:77]
	v_fma_f64 v[76:77], v[68:69], s[8:9], v[80:81]
	;; [unrolled: 1-line block ×3, first 2 shown]
	v_add_f64 v[68:69], v[60:61], v[64:65]
	ds_read_b128 v[122:125], v86 offset:11664
	s_waitcnt lgkmcnt(0)
	v_fma_f64 v[100:101], v[68:69], -0.5, v[122:123]
	v_add_f64 v[68:69], v[62:63], v[66:67]
	v_add_f64 v[122:123], v[122:123], v[60:61]
	v_fma_f64 v[126:127], v[68:69], -0.5, v[124:125]
	v_add_f64 v[68:69], v[124:125], v[62:63]
	v_add_f64 v[62:63], v[62:63], -v[66:67]
	v_add_f64 v[68:69], v[68:69], v[66:67]
	v_add_f64 v[66:67], v[122:123], v[64:65]
	v_add_f64 v[64:65], v[60:61], -v[64:65]
	v_fma_f64 v[60:61], v[62:63], s[6:7], v[100:101]
	v_fma_f64 v[122:123], v[62:63], s[8:9], v[100:101]
	;; [unrolled: 1-line block ×4, first 2 shown]
	ds_write_b128 v86, v[8:11]
	ds_write_b128 v86, v[4:7] offset:12960
	ds_write_b128 v86, v[0:3] offset:25920
	;; [unrolled: 1-line block ×29, first 2 shown]
	s_waitcnt lgkmcnt(0)
	s_barrier
	buffer_gl0_inv
	ds_read_b128 v[0:3], v86
	s_clause 0x3
	buffer_load_dword v6, off, s[36:39], 0 offset:472
	buffer_load_dword v7, off, s[36:39], 0 offset:476
	buffer_load_dword v8, off, s[36:39], 0 offset:480
	buffer_load_dword v9, off, s[36:39], 0 offset:484
	s_waitcnt vmcnt(0) lgkmcnt(0)
	v_mul_f64 v[4:5], v[8:9], v[2:3]
	v_fma_f64 v[4:5], v[6:7], v[0:1], v[4:5]
	v_mul_f64 v[0:1], v[8:9], v[0:1]
	v_fma_f64 v[6:7], v[6:7], v[2:3], -v[0:1]
	ds_read_b128 v[0:3], v86 offset:3888
	s_clause 0x3
	buffer_load_dword v10, off, s[36:39], 0 offset:456
	buffer_load_dword v11, off, s[36:39], 0 offset:460
	buffer_load_dword v12, off, s[36:39], 0 offset:464
	buffer_load_dword v13, off, s[36:39], 0 offset:468
	s_waitcnt vmcnt(0) lgkmcnt(0)
	v_mul_f64 v[8:9], v[12:13], v[2:3]
	v_fma_f64 v[8:9], v[10:11], v[0:1], v[8:9]
	v_mul_f64 v[0:1], v[12:13], v[0:1]
	v_fma_f64 v[10:11], v[10:11], v[2:3], -v[0:1]
	ds_read_b128 v[0:3], v86 offset:7776
	;; [unrolled: 11-line block ×7, first 2 shown]
	s_clause 0x3
	buffer_load_dword v34, off, s[36:39], 0 offset:360
	buffer_load_dword v35, off, s[36:39], 0 offset:364
	;; [unrolled: 1-line block ×4, first 2 shown]
	s_waitcnt vmcnt(0) lgkmcnt(0)
	v_mul_f64 v[32:33], v[36:37], v[2:3]
	v_fma_f64 v[32:33], v[34:35], v[0:1], v[32:33]
	v_mul_f64 v[0:1], v[36:37], v[0:1]
	v_fma_f64 v[34:35], v[34:35], v[2:3], -v[0:1]
	s_clause 0x2
	buffer_load_dword v2, off, s[36:39], 0 offset:96
	buffer_load_dword v3, off, s[36:39], 0 offset:100
	;; [unrolled: 1-line block ×3, first 2 shown]
	s_waitcnt vmcnt(2)
	v_mad_u64_u32 v[0:1], null, s2, v2, 0
	v_mad_u64_u32 v[1:2], null, s3, v2, v[1:2]
	s_load_dwordx2 s[2:3], s[4:5], 0x38
	s_waitcnt vmcnt(0)
	v_mad_u64_u32 v[2:3], null, s0, v36, 0
	s_mul_i32 s4, s1, 0xf30
	s_mul_hi_u32 s5, s0, 0xf30
	v_lshlrev_b64 v[0:1], 4, v[0:1]
	s_add_i32 s4, s5, s4
	s_mul_i32 s5, s0, 0xf30
	v_mad_u64_u32 v[36:37], null, s1, v36, v[3:4]
	s_mul_i32 s1, s1, 0xffff7c60
	s_sub_i32 s1, s1, s0
	v_mov_b32_e32 v3, v36
	s_waitcnt lgkmcnt(0)
	v_add_co_u32 v36, vcc_lo, s2, v0
	v_add_co_ci_u32_e32 v37, vcc_lo, s3, v1, vcc_lo
	v_lshlrev_b64 v[0:1], 4, v[2:3]
	s_mov_b32 s2, 0x40e53dbc
	s_mov_b32 s3, 0x3f3af834
	v_mul_f64 v[2:3], v[6:7], s[2:3]
	v_mul_f64 v[6:7], v[18:19], s[2:3]
	v_add_co_u32 v36, vcc_lo, v36, v0
	v_add_co_ci_u32_e32 v37, vcc_lo, v37, v1, vcc_lo
	v_mul_f64 v[0:1], v[4:5], s[2:3]
	v_add_co_u32 v4, vcc_lo, v36, s5
	v_add_co_ci_u32_e32 v5, vcc_lo, s4, v37, vcc_lo
	global_store_dwordx4 v[36:37], v[0:3], off
	v_mul_f64 v[0:1], v[8:9], s[2:3]
	v_mul_f64 v[2:3], v[10:11], s[2:3]
	ds_read_b128 v[8:11], v86 offset:31104
	global_store_dwordx4 v[4:5], v[0:3], off
	v_mul_f64 v[0:1], v[12:13], s[2:3]
	v_mul_f64 v[2:3], v[14:15], s[2:3]
	v_add_co_u32 v12, vcc_lo, v4, s5
	v_add_co_ci_u32_e32 v13, vcc_lo, s4, v5, vcc_lo
	v_mul_f64 v[4:5], v[16:17], s[2:3]
	global_store_dwordx4 v[12:13], v[0:3], off
	v_add_co_u32 v12, vcc_lo, v12, s5
	v_add_co_ci_u32_e32 v13, vcc_lo, s4, v13, vcc_lo
	v_mul_f64 v[0:1], v[20:21], s[2:3]
	v_add_co_u32 v14, vcc_lo, v12, s5
	global_store_dwordx4 v[12:13], v[4:7], off
	s_clause 0x3
	buffer_load_dword v18, off, s[36:39], 0 offset:344
	buffer_load_dword v19, off, s[36:39], 0 offset:348
	;; [unrolled: 1-line block ×4, first 2 shown]
	v_mul_f64 v[2:3], v[22:23], s[2:3]
	v_add_co_ci_u32_e32 v15, vcc_lo, s4, v13, vcc_lo
	v_add_co_u32 v36, vcc_lo, v14, s5
	v_mul_f64 v[4:5], v[24:25], s[2:3]
	v_mul_f64 v[6:7], v[26:27], s[2:3]
	v_add_co_ci_u32_e32 v37, vcc_lo, s4, v15, vcc_lo
	global_store_dwordx4 v[14:15], v[0:3], off
	ds_read_b128 v[0:3], v86 offset:34992
	v_mul_f64 v[14:15], v[30:31], s[2:3]
	s_waitcnt vmcnt(0) lgkmcnt(1)
	v_mul_f64 v[12:13], v[20:21], v[10:11]
	v_mul_f64 v[16:17], v[20:21], v[8:9]
	v_fma_f64 v[20:21], v[18:19], v[8:9], v[12:13]
	v_fma_f64 v[22:23], v[18:19], v[10:11], -v[16:17]
	s_clause 0x3
	buffer_load_dword v8, off, s[36:39], 0 offset:328
	buffer_load_dword v9, off, s[36:39], 0 offset:332
	;; [unrolled: 1-line block ×4, first 2 shown]
	v_mul_f64 v[12:13], v[28:29], s[2:3]
	v_add_co_u32 v28, vcc_lo, v36, s5
	v_add_co_ci_u32_e32 v29, vcc_lo, s4, v37, vcc_lo
	global_store_dwordx4 v[36:37], v[4:7], off
	ds_read_b128 v[4:7], v86 offset:5184
	v_mul_f64 v[18:19], v[34:35], s[2:3]
	v_mul_f64 v[16:17], v[32:33], s[2:3]
	s_waitcnt vmcnt(0) lgkmcnt(1)
	v_mul_f64 v[24:25], v[10:11], v[2:3]
	v_mul_f64 v[26:27], v[10:11], v[0:1]
	v_mov_b32_e32 v39, v9
	v_mov_b32_e32 v38, v8
	ds_read_b128 v[8:11], v86 offset:1296
	s_clause 0x3
	buffer_load_dword v34, off, s[36:39], 0 offset:184
	buffer_load_dword v35, off, s[36:39], 0 offset:188
	;; [unrolled: 1-line block ×4, first 2 shown]
	global_store_dwordx4 v[28:29], v[12:15], off
	v_add_co_u32 v28, vcc_lo, v28, s5
	v_add_co_ci_u32_e32 v29, vcc_lo, s4, v29, vcc_lo
	v_fma_f64 v[24:25], v[38:39], v[0:1], v[24:25]
	v_fma_f64 v[26:27], v[38:39], v[2:3], -v[26:27]
	ds_read_b128 v[0:3], v86 offset:9072
	s_clause 0x3
	buffer_load_dword v12, off, s[36:39], 0 offset:200
	buffer_load_dword v13, off, s[36:39], 0 offset:204
	;; [unrolled: 1-line block ×4, first 2 shown]
	global_store_dwordx4 v[28:29], v[16:19], off
	v_add_co_u32 v28, vcc_lo, v28, s5
	v_add_co_ci_u32_e32 v29, vcc_lo, s4, v29, vcc_lo
	v_add_co_u32 v46, vcc_lo, v28, s5
	v_add_co_ci_u32_e32 v47, vcc_lo, s4, v29, vcc_lo
	s_waitcnt vmcnt(6)
	v_mov_b32_e32 v41, v35
	s_waitcnt vmcnt(4) lgkmcnt(1)
	v_mul_f64 v[30:31], v[36:37], v[10:11]
	v_mul_f64 v[32:33], v[36:37], v[8:9]
	v_mov_b32_e32 v40, v34
	s_waitcnt vmcnt(2)
	v_mov_b32_e32 v43, v13
	s_waitcnt vmcnt(0)
	v_mul_f64 v[34:35], v[14:15], v[6:7]
	v_mul_f64 v[36:37], v[14:15], v[4:5]
	v_mov_b32_e32 v42, v12
	ds_read_b128 v[12:15], v86 offset:12960
	s_clause 0x3
	buffer_load_dword v16, off, s[36:39], 0 offset:216
	buffer_load_dword v17, off, s[36:39], 0 offset:220
	;; [unrolled: 1-line block ×4, first 2 shown]
	v_fma_f64 v[30:31], v[40:41], v[8:9], v[30:31]
	v_fma_f64 v[32:33], v[40:41], v[10:11], -v[32:33]
	ds_read_b128 v[8:11], v86 offset:16848
	v_fma_f64 v[34:35], v[42:43], v[4:5], v[34:35]
	v_fma_f64 v[36:37], v[42:43], v[6:7], -v[36:37]
	v_mul_f64 v[4:5], v[24:25], s[2:3]
	v_mul_f64 v[6:7], v[26:27], s[2:3]
	;; [unrolled: 1-line block ×4, first 2 shown]
	s_waitcnt vmcnt(2)
	v_mov_b32_e32 v53, v17
	s_waitcnt vmcnt(0) lgkmcnt(2)
	v_mul_f64 v[38:39], v[18:19], v[2:3]
	v_mul_f64 v[40:41], v[18:19], v[0:1]
	v_mov_b32_e32 v52, v16
	v_mul_f64 v[16:17], v[20:21], s[2:3]
	v_mul_f64 v[18:19], v[22:23], s[2:3]
	s_clause 0x3
	buffer_load_dword v20, off, s[36:39], 0 offset:232
	buffer_load_dword v21, off, s[36:39], 0 offset:236
	;; [unrolled: 1-line block ×4, first 2 shown]
	v_fma_f64 v[38:39], v[52:53], v[0:1], v[38:39]
	v_fma_f64 v[40:41], v[52:53], v[2:3], -v[40:41]
	v_mul_f64 v[2:3], v[32:33], s[2:3]
	v_mul_f64 v[0:1], v[30:31], s[2:3]
	v_mad_u64_u32 v[30:31], null, 0xffff7c60, s0, v[46:47]
	v_add_nc_u32_e32 v31, s1, v31
	v_add_co_u32 v36, vcc_lo, v30, s5
	v_add_co_ci_u32_e32 v37, vcc_lo, s4, v31, vcc_lo
	s_waitcnt vmcnt(2)
	v_mov_b32_e32 v55, v21
	s_waitcnt vmcnt(0) lgkmcnt(1)
	v_mul_f64 v[42:43], v[22:23], v[14:15]
	v_mul_f64 v[44:45], v[22:23], v[12:13]
	v_mov_b32_e32 v54, v20
	s_clause 0x3
	buffer_load_dword v20, off, s[36:39], 0 offset:248
	buffer_load_dword v21, off, s[36:39], 0 offset:252
	;; [unrolled: 1-line block ×4, first 2 shown]
	v_fma_f64 v[32:33], v[54:55], v[12:13], v[42:43]
	v_fma_f64 v[34:35], v[54:55], v[14:15], -v[44:45]
	ds_read_b128 v[12:15], v86 offset:24624
	s_waitcnt vmcnt(0) lgkmcnt(1)
	v_mul_f64 v[48:49], v[22:23], v[10:11]
	v_mul_f64 v[50:51], v[22:23], v[8:9]
	v_mov_b32_e32 v57, v21
	v_mov_b32_e32 v56, v20
	ds_read_b128 v[20:23], v86 offset:20736
	v_fma_f64 v[42:43], v[56:57], v[8:9], v[48:49]
	v_fma_f64 v[44:45], v[56:57], v[10:11], -v[50:51]
	s_clause 0x3
	buffer_load_dword v8, off, s[36:39], 0 offset:264
	buffer_load_dword v9, off, s[36:39], 0 offset:268
	;; [unrolled: 1-line block ×4, first 2 shown]
	global_store_dwordx4 v[28:29], v[16:19], off
	v_mul_f64 v[16:17], v[38:39], s[2:3]
	v_mul_f64 v[18:19], v[40:41], s[2:3]
	;; [unrolled: 1-line block ×3, first 2 shown]
	s_waitcnt vmcnt(2)
	v_mov_b32_e32 v53, v9
	s_waitcnt vmcnt(0) lgkmcnt(0)
	v_mul_f64 v[48:49], v[10:11], v[22:23]
	v_mul_f64 v[50:51], v[10:11], v[20:21]
	v_mov_b32_e32 v52, v8
	ds_read_b128 v[8:11], v86 offset:28512
	global_store_dwordx4 v[46:47], v[4:7], off
	global_store_dwordx4 v[30:31], v[0:3], off
	;; [unrolled: 1-line block ×3, first 2 shown]
	ds_read_b128 v[4:7], v86 offset:32400
	s_clause 0x3
	buffer_load_dword v0, off, s[36:39], 0 offset:296
	buffer_load_dword v1, off, s[36:39], 0 offset:300
	;; [unrolled: 1-line block ×4, first 2 shown]
	v_mul_f64 v[24:25], v[32:33], s[2:3]
	v_mul_f64 v[26:27], v[34:35], s[2:3]
	v_mul_f64 v[30:31], v[44:45], s[2:3]
	v_add_co_u32 v36, vcc_lo, v36, s5
	v_add_co_ci_u32_e32 v37, vcc_lo, s4, v37, vcc_lo
	v_add_co_u32 v46, vcc_lo, v36, s5
	v_add_co_ci_u32_e32 v47, vcc_lo, s4, v37, vcc_lo
	v_fma_f64 v[32:33], v[52:53], v[20:21], v[48:49]
	v_fma_f64 v[34:35], v[52:53], v[22:23], -v[50:51]
	v_add_co_u32 v52, vcc_lo, v46, s5
	v_add_co_ci_u32_e32 v53, vcc_lo, s4, v47, vcc_lo
	s_waitcnt vmcnt(2)
	v_mov_b32_e32 v57, v1
	s_waitcnt vmcnt(0)
	v_mul_f64 v[38:39], v[2:3], v[14:15]
	v_mul_f64 v[40:41], v[2:3], v[12:13]
	v_mov_b32_e32 v56, v0
	ds_read_b128 v[0:3], v86 offset:36288
	s_clause 0x3
	buffer_load_dword v20, off, s[36:39], 0 offset:280
	buffer_load_dword v21, off, s[36:39], 0 offset:284
	;; [unrolled: 1-line block ×4, first 2 shown]
	v_fma_f64 v[38:39], v[56:57], v[12:13], v[38:39]
	v_fma_f64 v[40:41], v[56:57], v[14:15], -v[40:41]
	s_waitcnt vmcnt(2)
	v_mov_b32_e32 v55, v21
	s_waitcnt vmcnt(0) lgkmcnt(2)
	v_mul_f64 v[42:43], v[22:23], v[10:11]
	v_mul_f64 v[44:45], v[22:23], v[8:9]
	v_mov_b32_e32 v54, v20
	s_clause 0x3
	buffer_load_dword v20, off, s[36:39], 0 offset:312
	buffer_load_dword v21, off, s[36:39], 0 offset:316
	;; [unrolled: 1-line block ×4, first 2 shown]
	ds_read_b128 v[12:15], v86 offset:6480
	s_waitcnt vmcnt(2)
	v_mov_b32_e32 v59, v21
	s_waitcnt vmcnt(0) lgkmcnt(2)
	v_mul_f64 v[48:49], v[22:23], v[6:7]
	v_mul_f64 v[50:51], v[22:23], v[4:5]
	v_mov_b32_e32 v58, v20
	ds_read_b128 v[20:23], v86 offset:2592
	global_store_dwordx4 v[36:37], v[16:19], off
	global_store_dwordx4 v[46:47], v[24:27], off
	s_clause 0x3
	buffer_load_dword v16, off, s[36:39], 0 offset:152
	buffer_load_dword v17, off, s[36:39], 0 offset:156
	;; [unrolled: 1-line block ×4, first 2 shown]
	global_store_dwordx4 v[52:53], v[28:31], off
	v_fma_f64 v[28:29], v[54:55], v[8:9], v[42:43]
	v_fma_f64 v[30:31], v[54:55], v[10:11], -v[44:45]
	s_clause 0x3
	buffer_load_dword v8, off, s[36:39], 0 offset:136
	buffer_load_dword v9, off, s[36:39], 0 offset:140
	;; [unrolled: 1-line block ×4, first 2 shown]
	v_fma_f64 v[4:5], v[58:59], v[4:5], v[48:49]
	v_fma_f64 v[6:7], v[58:59], v[6:7], -v[50:51]
	v_mul_f64 v[42:43], v[30:31], s[2:3]
	s_waitcnt vmcnt(4) lgkmcnt(2)
	v_mul_f64 v[24:25], v[18:19], v[2:3]
	v_mul_f64 v[26:27], v[18:19], v[0:1]
	v_mov_b32_e32 v47, v17
	v_mov_b32_e32 v46, v16
	s_waitcnt vmcnt(2)
	v_mov_b32_e32 v55, v9
	v_mov_b32_e32 v54, v8
	v_mul_f64 v[8:9], v[38:39], s[2:3]
	s_clause 0x3
	buffer_load_dword v36, off, s[36:39], 0 offset:168
	buffer_load_dword v37, off, s[36:39], 0 offset:172
	;; [unrolled: 1-line block ×4, first 2 shown]
	s_waitcnt vmcnt(4) lgkmcnt(0)
	v_mul_f64 v[44:45], v[10:11], v[20:21]
	v_mul_f64 v[18:19], v[34:35], s[2:3]
	v_mul_f64 v[34:35], v[10:11], v[22:23]
	v_mul_f64 v[16:17], v[32:33], s[2:3]
	v_mul_f64 v[10:11], v[40:41], s[2:3]
	v_add_co_u32 v32, vcc_lo, v52, s5
	v_add_co_ci_u32_e32 v33, vcc_lo, s4, v53, vcc_lo
	v_mul_f64 v[40:41], v[28:29], s[2:3]
	v_add_co_u32 v52, vcc_lo, v32, s5
	v_add_co_ci_u32_e32 v53, vcc_lo, s4, v33, vcc_lo
	v_fma_f64 v[24:25], v[46:47], v[0:1], v[24:25]
	v_fma_f64 v[26:27], v[46:47], v[2:3], -v[26:27]
	v_mul_f64 v[46:47], v[6:7], s[2:3]
	ds_read_b128 v[0:3], v86 offset:14256
	v_add_co_u32 v30, vcc_lo, v52, s5
	v_add_co_ci_u32_e32 v31, vcc_lo, s4, v53, vcc_lo
	v_fma_f64 v[22:23], v[54:55], v[22:23], -v[44:45]
	v_mul_f64 v[44:45], v[4:5], s[2:3]
	v_fma_f64 v[20:21], v[54:55], v[20:21], v[34:35]
	v_add_co_u32 v54, vcc_lo, v30, s5
	v_add_co_ci_u32_e32 v55, vcc_lo, s4, v31, vcc_lo
	v_mul_f64 v[22:23], v[22:23], s[2:3]
	v_mul_f64 v[20:21], v[20:21], s[2:3]
	s_waitcnt vmcnt(2)
	v_mov_b32_e32 v57, v37
	s_waitcnt vmcnt(0)
	v_mul_f64 v[48:49], v[38:39], v[14:15]
	v_mul_f64 v[50:51], v[38:39], v[12:13]
	v_mov_b32_e32 v56, v36
	ds_read_b128 v[36:39], v86 offset:10368
	s_clause 0x3
	buffer_load_dword v4, off, s[36:39], 0 offset:104
	buffer_load_dword v5, off, s[36:39], 0 offset:108
	;; [unrolled: 1-line block ×4, first 2 shown]
	global_store_dwordx4 v[32:33], v[16:19], off
	global_store_dwordx4 v[52:53], v[8:11], off
	v_add_co_u32 v16, vcc_lo, v54, s5
	v_add_co_ci_u32_e32 v17, vcc_lo, s4, v55, vcc_lo
	v_mad_u64_u32 v[28:29], null, 0xffff7c60, s0, v[16:17]
	v_fma_f64 v[12:13], v[56:57], v[12:13], v[48:49]
	v_fma_f64 v[14:15], v[56:57], v[14:15], -v[50:51]
	v_mul_f64 v[48:49], v[24:25], s[2:3]
	v_mul_f64 v[50:51], v[26:27], s[2:3]
	v_add_nc_u32_e32 v29, s1, v29
	v_mul_f64 v[24:25], v[12:13], s[2:3]
	v_mul_f64 v[26:27], v[14:15], s[2:3]
	s_waitcnt vmcnt(0) lgkmcnt(0)
	v_mul_f64 v[56:57], v[6:7], v[38:39]
	v_mul_f64 v[58:59], v[6:7], v[36:37]
	v_mov_b32_e32 v61, v5
	v_mov_b32_e32 v60, v4
	ds_read_b128 v[4:7], v86 offset:18144
	s_clause 0x3
	buffer_load_dword v64, off, s[36:39], 0 offset:80
	buffer_load_dword v65, off, s[36:39], 0 offset:84
	buffer_load_dword v66, off, s[36:39], 0 offset:88
	buffer_load_dword v67, off, s[36:39], 0 offset:92
	ds_read_b128 v[8:11], v86 offset:22032
	global_store_dwordx4 v[30:31], v[40:43], off
	ds_read_b128 v[12:15], v86 offset:25920
	global_store_dwordx4 v[54:55], v[44:47], off
	global_store_dwordx4 v[16:17], v[48:51], off
	ds_read_b128 v[16:19], v86 offset:29808
	v_add_co_u32 v48, vcc_lo, v28, s5
	v_add_co_ci_u32_e32 v49, vcc_lo, s4, v29, vcc_lo
	v_fma_f64 v[30:31], v[60:61], v[36:37], v[56:57]
	v_fma_f64 v[52:53], v[60:61], v[38:39], -v[58:59]
	ds_read_b128 v[36:39], v86 offset:33696
	s_clause 0x3
	buffer_load_dword v58, off, s[36:39], 0 offset:32
	buffer_load_dword v59, off, s[36:39], 0 offset:36
	;; [unrolled: 1-line block ×4, first 2 shown]
	ds_read_b128 v[40:43], v86 offset:37584
	s_waitcnt vmcnt(4)
	v_mul_f64 v[32:33], v[66:67], v[2:3]
	v_mul_f64 v[34:35], v[66:67], v[0:1]
	s_waitcnt vmcnt(0) lgkmcnt(5)
	v_mul_f64 v[44:45], v[60:61], v[6:7]
	v_mul_f64 v[46:47], v[60:61], v[4:5]
	s_clause 0x3
	buffer_load_dword v60, off, s[36:39], 0
	buffer_load_dword v61, off, s[36:39], 0 offset:4
	buffer_load_dword v62, off, s[36:39], 0 offset:8
	;; [unrolled: 1-line block ×3, first 2 shown]
	global_store_dwordx4 v[28:29], v[20:23], off
	global_store_dwordx4 v[48:49], v[24:27], off
	v_fma_f64 v[32:33], v[64:65], v[0:1], v[32:33]
	v_fma_f64 v[34:35], v[64:65], v[2:3], -v[34:35]
	s_clause 0x3
	buffer_load_dword v0, off, s[36:39], 0 offset:16
	buffer_load_dword v1, off, s[36:39], 0 offset:20
	;; [unrolled: 1-line block ×4, first 2 shown]
	v_add_co_u32 v48, vcc_lo, v48, s5
	v_add_co_ci_u32_e32 v49, vcc_lo, s4, v49, vcc_lo
	v_fma_f64 v[44:45], v[58:59], v[4:5], v[44:45]
	v_fma_f64 v[46:47], v[58:59], v[6:7], -v[46:47]
	v_mul_f64 v[4:5], v[32:33], s[2:3]
	v_mul_f64 v[6:7], v[34:35], s[2:3]
	v_add_co_u32 v32, vcc_lo, v48, s5
	v_add_co_ci_u32_e32 v33, vcc_lo, s4, v49, vcc_lo
	s_waitcnt vmcnt(4) lgkmcnt(4)
	v_mul_f64 v[50:51], v[62:63], v[10:11]
	v_mul_f64 v[54:55], v[62:63], v[8:9]
	s_waitcnt vmcnt(2)
	v_mov_b32_e32 v63, v1
	v_mov_b32_e32 v62, v0
	v_mul_f64 v[0:1], v[30:31], s[2:3]
	s_clause 0x7
	buffer_load_dword v28, off, s[36:39], 0 offset:48
	buffer_load_dword v29, off, s[36:39], 0 offset:52
	;; [unrolled: 1-line block ×8, first 2 shown]
	s_waitcnt vmcnt(8) lgkmcnt(3)
	v_mul_f64 v[20:21], v[2:3], v[14:15]
	v_mul_f64 v[22:23], v[2:3], v[12:13]
	;; [unrolled: 1-line block ×3, first 2 shown]
	v_fma_f64 v[50:51], v[60:61], v[8:9], v[50:51]
	v_fma_f64 v[54:55], v[60:61], v[10:11], -v[54:55]
	v_mul_f64 v[8:9], v[44:45], s[2:3]
	v_mul_f64 v[10:11], v[46:47], s[2:3]
	v_fma_f64 v[20:21], v[62:63], v[12:13], v[20:21]
	v_fma_f64 v[22:23], v[62:63], v[14:15], -v[22:23]
	v_mul_f64 v[12:13], v[50:51], s[2:3]
	v_mul_f64 v[14:15], v[54:55], s[2:3]
	s_waitcnt vmcnt(6)
	v_mov_b32_e32 v65, v29
	s_waitcnt vmcnt(4) lgkmcnt(2)
	v_mul_f64 v[24:25], v[30:31], v[18:19]
	v_mul_f64 v[26:27], v[30:31], v[16:17]
	v_mov_b32_e32 v64, v28
	s_waitcnt vmcnt(0) lgkmcnt(1)
	v_mul_f64 v[28:29], v[68:69], v[38:39]
	v_mul_f64 v[30:31], v[68:69], v[36:37]
	s_clause 0x3
	buffer_load_dword v68, off, s[36:39], 0 offset:120
	buffer_load_dword v69, off, s[36:39], 0 offset:124
	;; [unrolled: 1-line block ×4, first 2 shown]
	global_store_dwordx4 v[48:49], v[0:3], off
	global_store_dwordx4 v[32:33], v[4:7], off
	v_fma_f64 v[24:25], v[64:65], v[16:17], v[24:25]
	v_fma_f64 v[26:27], v[64:65], v[18:19], -v[26:27]
	v_mul_f64 v[16:17], v[20:21], s[2:3]
	v_fma_f64 v[28:29], v[66:67], v[36:37], v[28:29]
	v_fma_f64 v[30:31], v[66:67], v[38:39], -v[30:31]
	v_add_co_u32 v38, vcc_lo, v32, s5
	v_add_co_ci_u32_e32 v39, vcc_lo, s4, v33, vcc_lo
	v_mul_f64 v[18:19], v[22:23], s[2:3]
	global_store_dwordx4 v[38:39], v[8:11], off
	v_mul_f64 v[20:21], v[24:25], s[2:3]
	v_mul_f64 v[22:23], v[26:27], s[2:3]
	;; [unrolled: 1-line block ×4, first 2 shown]
	s_waitcnt vmcnt(0) lgkmcnt(0)
	v_mul_f64 v[52:53], v[70:71], v[42:43]
	v_mul_f64 v[56:57], v[70:71], v[40:41]
	v_fma_f64 v[34:35], v[68:69], v[40:41], v[52:53]
	v_fma_f64 v[36:37], v[68:69], v[42:43], -v[56:57]
	v_add_co_u32 v40, vcc_lo, v38, s5
	v_add_co_ci_u32_e32 v41, vcc_lo, s4, v39, vcc_lo
	v_add_co_u32 v42, vcc_lo, v40, s5
	v_add_co_ci_u32_e32 v43, vcc_lo, s4, v41, vcc_lo
	;; [unrolled: 2-line block ×4, first 2 shown]
	v_mul_f64 v[28:29], v[34:35], s[2:3]
	v_mul_f64 v[30:31], v[36:37], s[2:3]
	v_add_co_u32 v4, vcc_lo, v2, s5
	v_add_co_ci_u32_e32 v5, vcc_lo, s4, v3, vcc_lo
	global_store_dwordx4 v[40:41], v[12:15], off
	global_store_dwordx4 v[42:43], v[16:19], off
	;; [unrolled: 1-line block ×5, first 2 shown]
.LBB0_2:
	s_endpgm
	.section	.rodata,"a",@progbits
	.p2align	6, 0x0
	.amdhsa_kernel bluestein_single_back_len2430_dim1_dp_op_CI_CI
		.amdhsa_group_segment_fixed_size 38880
		.amdhsa_private_segment_fixed_size 1788
		.amdhsa_kernarg_size 104
		.amdhsa_user_sgpr_count 6
		.amdhsa_user_sgpr_private_segment_buffer 1
		.amdhsa_user_sgpr_dispatch_ptr 0
		.amdhsa_user_sgpr_queue_ptr 0
		.amdhsa_user_sgpr_kernarg_segment_ptr 1
		.amdhsa_user_sgpr_dispatch_id 0
		.amdhsa_user_sgpr_flat_scratch_init 0
		.amdhsa_user_sgpr_private_segment_size 0
		.amdhsa_wavefront_size32 1
		.amdhsa_uses_dynamic_stack 0
		.amdhsa_system_sgpr_private_segment_wavefront_offset 1
		.amdhsa_system_sgpr_workgroup_id_x 1
		.amdhsa_system_sgpr_workgroup_id_y 0
		.amdhsa_system_sgpr_workgroup_id_z 0
		.amdhsa_system_sgpr_workgroup_info 0
		.amdhsa_system_vgpr_workitem_id 0
		.amdhsa_next_free_vgpr 256
		.amdhsa_next_free_sgpr 40
		.amdhsa_reserve_vcc 1
		.amdhsa_reserve_flat_scratch 0
		.amdhsa_float_round_mode_32 0
		.amdhsa_float_round_mode_16_64 0
		.amdhsa_float_denorm_mode_32 3
		.amdhsa_float_denorm_mode_16_64 3
		.amdhsa_dx10_clamp 1
		.amdhsa_ieee_mode 1
		.amdhsa_fp16_overflow 0
		.amdhsa_workgroup_processor_mode 1
		.amdhsa_memory_ordered 1
		.amdhsa_forward_progress 0
		.amdhsa_shared_vgpr_count 0
		.amdhsa_exception_fp_ieee_invalid_op 0
		.amdhsa_exception_fp_denorm_src 0
		.amdhsa_exception_fp_ieee_div_zero 0
		.amdhsa_exception_fp_ieee_overflow 0
		.amdhsa_exception_fp_ieee_underflow 0
		.amdhsa_exception_fp_ieee_inexact 0
		.amdhsa_exception_int_div_zero 0
	.end_amdhsa_kernel
	.text
.Lfunc_end0:
	.size	bluestein_single_back_len2430_dim1_dp_op_CI_CI, .Lfunc_end0-bluestein_single_back_len2430_dim1_dp_op_CI_CI
                                        ; -- End function
	.section	.AMDGPU.csdata,"",@progbits
; Kernel info:
; codeLenInByte = 52080
; NumSgprs: 42
; NumVgprs: 256
; ScratchSize: 1788
; MemoryBound: 0
; FloatMode: 240
; IeeeMode: 1
; LDSByteSize: 38880 bytes/workgroup (compile time only)
; SGPRBlocks: 5
; VGPRBlocks: 31
; NumSGPRsForWavesPerEU: 42
; NumVGPRsForWavesPerEU: 256
; Occupancy: 3
; WaveLimiterHint : 1
; COMPUTE_PGM_RSRC2:SCRATCH_EN: 1
; COMPUTE_PGM_RSRC2:USER_SGPR: 6
; COMPUTE_PGM_RSRC2:TRAP_HANDLER: 0
; COMPUTE_PGM_RSRC2:TGID_X_EN: 1
; COMPUTE_PGM_RSRC2:TGID_Y_EN: 0
; COMPUTE_PGM_RSRC2:TGID_Z_EN: 0
; COMPUTE_PGM_RSRC2:TIDIG_COMP_CNT: 0
	.text
	.p2alignl 6, 3214868480
	.fill 48, 4, 3214868480
	.type	__hip_cuid_e5d73b08252ce2f2,@object ; @__hip_cuid_e5d73b08252ce2f2
	.section	.bss,"aw",@nobits
	.globl	__hip_cuid_e5d73b08252ce2f2
__hip_cuid_e5d73b08252ce2f2:
	.byte	0                               ; 0x0
	.size	__hip_cuid_e5d73b08252ce2f2, 1

	.ident	"AMD clang version 19.0.0git (https://github.com/RadeonOpenCompute/llvm-project roc-6.4.0 25133 c7fe45cf4b819c5991fe208aaa96edf142730f1d)"
	.section	".note.GNU-stack","",@progbits
	.addrsig
	.addrsig_sym __hip_cuid_e5d73b08252ce2f2
	.amdgpu_metadata
---
amdhsa.kernels:
  - .args:
      - .actual_access:  read_only
        .address_space:  global
        .offset:         0
        .size:           8
        .value_kind:     global_buffer
      - .actual_access:  read_only
        .address_space:  global
        .offset:         8
        .size:           8
        .value_kind:     global_buffer
      - .actual_access:  read_only
        .address_space:  global
        .offset:         16
        .size:           8
        .value_kind:     global_buffer
      - .actual_access:  read_only
        .address_space:  global
        .offset:         24
        .size:           8
        .value_kind:     global_buffer
      - .actual_access:  read_only
        .address_space:  global
        .offset:         32
        .size:           8
        .value_kind:     global_buffer
      - .offset:         40
        .size:           8
        .value_kind:     by_value
      - .address_space:  global
        .offset:         48
        .size:           8
        .value_kind:     global_buffer
      - .address_space:  global
        .offset:         56
        .size:           8
        .value_kind:     global_buffer
      - .address_space:  global
        .offset:         64
        .size:           8
        .value_kind:     global_buffer
      - .address_space:  global
        .offset:         72
        .size:           8
        .value_kind:     global_buffer
      - .offset:         80
        .size:           4
        .value_kind:     by_value
      - .address_space:  global
        .offset:         88
        .size:           8
        .value_kind:     global_buffer
      - .address_space:  global
        .offset:         96
        .size:           8
        .value_kind:     global_buffer
    .group_segment_fixed_size: 38880
    .kernarg_segment_align: 8
    .kernarg_segment_size: 104
    .language:       OpenCL C
    .language_version:
      - 2
      - 0
    .max_flat_workgroup_size: 81
    .name:           bluestein_single_back_len2430_dim1_dp_op_CI_CI
    .private_segment_fixed_size: 1788
    .sgpr_count:     42
    .sgpr_spill_count: 0
    .symbol:         bluestein_single_back_len2430_dim1_dp_op_CI_CI.kd
    .uniform_work_group_size: 1
    .uses_dynamic_stack: false
    .vgpr_count:     256
    .vgpr_spill_count: 446
    .wavefront_size: 32
    .workgroup_processor_mode: 1
amdhsa.target:   amdgcn-amd-amdhsa--gfx1030
amdhsa.version:
  - 1
  - 2
...

	.end_amdgpu_metadata
